;; amdgpu-corpus repo=ROCm/aiter kind=harvested arch=n/a opt=n/a

/root/src/amdgpu-assembly/repos/ROCm__aiter/hsa/gfx942/fmoe_2stages/fmoe_stage1_bf16_pertokenFp8_g1u1_96x64_2tg_pf2.co:	file format elf64-amdgpu

Disassembly of section .text:

0000000000002a00 <_ZN5aiter47fmoe_stage1_bf16_pertokenFp8_g1u1_96x64_2tg_pf2E>:
	s_and_b32 s1, s1, 0xffff                                   // 000000002A00: 8601FF01 0000FFFF
	s_load_dwordx2 s[8:9], s[0:1], 0x0                         // 000000002A08: C0060200 00000000
	s_load_dwordx2 s[20:21], s[0:1], 0x10                      // 000000002A10: C0060500 00000010
	s_load_dwordx2 s[24:25], s[0:1], 0x20                      // 000000002A18: C0060600 00000020
	s_load_dwordx2 s[48:49], s[0:1], 0x30                      // 000000002A20: C0060C00 00000030
	s_load_dwordx2 s[28:29], s[0:1], 0x40                      // 000000002A28: C0060700 00000040
	s_load_dwordx2 s[32:33], s[0:1], 0x50                      // 000000002A30: C0060800 00000050
	s_load_dwordx2 s[36:37], s[0:1], 0x60                      // 000000002A38: C0060900 00000060
	s_load_dwordx2 s[12:13], s[0:1], 0x70                      // 000000002A40: C0060300 00000070
	s_load_dwordx2 s[44:45], s[0:1], 0x80                      // 000000002A48: C0060B00 00000080
	s_mov_b32 s89, 0                                           // 000000002A50: BED90080
	s_load_dword s64, s[0:1], 0x90                             // 000000002A54: C0021000 00000090
	s_load_dword s65, s[0:1], 0xa0                             // 000000002A5C: C0021040 000000A0
	s_load_dword s66, s[0:1], 0xb0                             // 000000002A64: C0021080 000000B0
	s_load_dword s67, s[0:1], 0xc0                             // 000000002A6C: C00210C0 000000C0
	s_load_dword s68, s[0:1], 0xd0                             // 000000002A74: C0021100 000000D0
	s_load_dword s69, s[0:1], 0xe0                             // 000000002A7C: C0021140 000000E0
	s_load_dword s71, s[0:1], 0xf0                             // 000000002A84: C00211C0 000000F0
	s_load_dword s72, s[0:1], 0x100                            // 000000002A8C: C0021200 00000100
	s_load_dword s74, s[0:1], 0x110                            // 000000002A94: C0021280 00000110
	s_load_dword s76, s[0:1], 0x120                            // 000000002A9C: C0021300 00000120
	s_load_dword s56, s[0:1], 0x130                            // 000000002AA4: C0020E00 00000130
	s_load_dword s88, s[0:1], 0x140                            // 000000002AAC: C0021600 00000140
	s_load_dword s89, s[0:1], 0x150                            // 000000002AB4: C0021640 00000150
	v_lshrrev_b32_e32 v1, 10, v0                               // 000000002ABC: 2002008A
	v_lshrrev_b32_e32 v2, 10, v1                               // 000000002AC0: 2004028A
	v_and_b32_e32 v2, 0x3ff, v2                                // 000000002AC4: 260404FF 000003FF
	v_and_b32_e32 v1, 0x3ff, v1                                // 000000002ACC: 260202FF 000003FF
	v_and_b32_e32 v0, 0x3ff, v0                                // 000000002AD4: 260000FF 000003FF
	v_lshrrev_b32_e32 v3, 6, v0                                // 000000002ADC: 20060086
	v_and_b32_e32 v0, 63, v0                                   // 000000002AE0: 260000BF
	s_mov_b32 s2, s2                                           // 000000002AE4: BE820002
	s_mov_b32 s3, s3                                           // 000000002AE8: BE830003
	s_mov_b32 s4, s4                                           // 000000002AEC: BE840004
	v_readfirstlane_b32 s7, v3                                 // 000000002AF0: 7E0E0503
	s_waitcnt lgkmcnt(0)                                       // 000000002AF4: BF8CC07F
	s_and_b32 s49, s49, 0xffff                                 // 000000002AF8: 8631FF31 0000FFFF
	s_load_dword s48, s[48:49], 0x0                            // 000000002B00: C0020C18 00000000
	s_and_b32 s45, s45, 0xffff                                 // 000000002B08: 862DFF2D 0000FFFF
	s_and_b32 s9, s9, 0xffff                                   // 000000002B10: 8609FF09 0000FFFF
	s_mul_i32 s60, s66, s68                                    // 000000002B18: 923C4442
	s_mul_i32 s61, s66, 4                                      // 000000002B1C: 923D8442
	s_mov_b32 s22, s60                                         // 000000002B20: BE96003C
	s_mov_b32 s26, -16                                         // 000000002B24: BE9A00D0
	s_mov_b32 s30, s61                                         // 000000002B28: BE9E003D
	s_mov_b32 s14, 0x180                                       // 000000002B2C: BE8E00FF 00000180
	s_mov_b32 s38, -16                                         // 000000002B34: BEA600D0
	s_mov_b32 s10, -16                                         // 000000002B38: BE8A00D0
	s_mov_b32 s34, 0x100                                       // 000000002B3C: BEA200FF 00000100
	s_mov_b32 s23, 0x20000                                     // 000000002B44: BE9700FF 00020000
	s_mov_b32 s27, 0x20000                                     // 000000002B4C: BE9B00FF 00020000
	s_mov_b32 s31, 0x20000                                     // 000000002B54: BE9F00FF 00020000
	s_mov_b32 s35, 0x20000                                     // 000000002B5C: BEA300FF 00020000
	s_mov_b32 s15, 0x20000                                     // 000000002B64: BE8F00FF 00020000
	s_mov_b32 s39, 0x20000                                     // 000000002B6C: BEA700FF 00020000
	s_mov_b32 s11, 0x20000                                     // 000000002B74: BE8B00FF 00020000
	s_and_b32 s21, s21, 0xffff                                 // 000000002B7C: 8615FF15 0000FFFF
	s_and_b32 s25, s25, 0xffff                                 // 000000002B84: 8619FF19 0000FFFF
	s_and_b32 s29, s29, 0xffff                                 // 000000002B8C: 861DFF1D 0000FFFF
	s_and_b32 s33, s33, 0xffff                                 // 000000002B94: 8621FF21 0000FFFF
	s_and_b32 s13, s13, 0xffff                                 // 000000002B9C: 860DFF0D 0000FFFF
	s_and_b32 s37, s37, 0xffff                                 // 000000002BA4: 8625FF25 0000FFFF
	s_or_b32 s21, s21, 0x40000                                 // 000000002BAC: 8715FF15 00040000
	s_or_b32 s25, s25, 0x40000                                 // 000000002BB4: 8719FF19 00040000
	s_or_b32 s29, s29, 0x40000                                 // 000000002BBC: 871DFF1D 00040000
	s_or_b32 s33, s33, 0x40000                                 // 000000002BC4: 8721FF21 00040000
	s_or_b32 s13, s13, 0x40000                                 // 000000002BCC: 870DFF0D 00040000
	s_or_b32 s37, s37, 0x40000                                 // 000000002BD4: 8725FF25 00040000
	v_accvgpr_write_b32 a111, 0                                // 000000002BDC: D3D9406F 18000080
	v_mov_b32_e32 v115, 0                                      // 000000002BE4: 7EE60280
	s_waitcnt lgkmcnt(0)                                       // 000000002BE8: BF8CC07F
	s_mul_i32 s60, s3, 0x60                                    // 000000002BEC: 923CFF03 00000060
	s_cmp_lt_i32 s60, s48                                      // 000000002BF4: BF04303C
	s_cbranch_scc0 label_1A5B                                  // 000000002BF8: BF8419D9
	s_mov_b32 s80, 0                                           // 000000002BFC: BED00080
	s_lshr_b32 s81, s64, s88                                   // 000000002C00: 8F515840
	s_mul_i32 s60, s3, 4                                       // 000000002C04: 923C8403
	s_add_u32 s44, s60, s44                                    // 000000002C08: 802C2C3C
	s_addc_u32 s45, 0, s45                                     // 000000002C0C: 822D2D80
	s_load_dword s5, s[44:45], 0x0                             // 000000002C10: C0020156 00000000
	s_mul_i32 s60, s3, 0x60                                    // 000000002C18: 923CFF03 00000060
	s_mul_i32 s60, 4, s60                                      // 000000002C20: 923C3C84
	s_add_u32 s12, s60, s12                                    // 000000002C24: 800C0C3C
	s_addc_u32 s13, 0, s13                                     // 000000002C28: 820D0D80
	v_and_b32_e32 v4, 15, v0                                   // 000000002C2C: 2608008F
	v_lshlrev_b32_e32 v4, 2, v4                                // 000000002C30: 24080882
	buffer_load_dword v28, v4, s[12:15], 0 offen               // 000000002C34: E0501000 80031C04
	v_add_u32_e32 v4, 64, v4                                   // 000000002C3C: 680808C0
	buffer_load_dword v29, v4, s[12:15], 0 offen               // 000000002C40: E0501000 80031D04
	v_add_u32_e32 v4, 64, v4                                   // 000000002C48: 680808C0
	buffer_load_dword v30, v4, s[12:15], 0 offen               // 000000002C4C: E0501000 80031E04
	v_add_u32_e32 v4, 64, v4                                   // 000000002C54: 680808C0
	buffer_load_dword v31, v4, s[12:15], 0 offen               // 000000002C58: E0501000 80031F04
	v_add_u32_e32 v4, 64, v4                                   // 000000002C60: 680808C0
	buffer_load_dword v32, v4, s[12:15], 0 offen               // 000000002C64: E0501000 80032004
	v_add_u32_e32 v4, 64, v4                                   // 000000002C6C: 680808C0
	buffer_load_dword v33, v4, s[12:15], 0 offen               // 000000002C70: E0501000 80032104
	v_add_u32_e32 v4, 64, v4                                   // 000000002C78: 680808C0
	s_mul_i32 s60, 4, s7                                       // 000000002C7C: 923C0784
	v_lshlrev_b32_e32 v4, 4, v0                                // 000000002C80: 24080084
	v_add_u32_e32 v4, s60, v4                                  // 000000002C84: 6808083C
	buffer_load_dword v3, v4, s[12:15], 0 offen                // 000000002C88: E0501000 80030304
	v_mov_b32_e32 v68, 0                                       // 000000002C90: 7E880280
	v_mov_b32_e32 v92, 0                                       // 000000002C94: 7EB80280
	v_mov_b32_e32 v69, 0                                       // 000000002C98: 7E8A0280
	v_mov_b32_e32 v93, 0                                       // 000000002C9C: 7EBA0280
	v_mov_b32_e32 v70, 0                                       // 000000002CA0: 7E8C0280
	v_mov_b32_e32 v94, 0                                       // 000000002CA4: 7EBC0280
	v_mov_b32_e32 v71, 0                                       // 000000002CA8: 7E8E0280
	v_mov_b32_e32 v95, 0                                       // 000000002CAC: 7EBE0280
	v_mov_b32_e32 v72, 0                                       // 000000002CB0: 7E900280
	v_mov_b32_e32 v96, 0                                       // 000000002CB4: 7EC00280
	v_mov_b32_e32 v73, 0                                       // 000000002CB8: 7E920280
	v_mov_b32_e32 v97, 0                                       // 000000002CBC: 7EC20280
	v_mov_b32_e32 v74, 0                                       // 000000002CC0: 7E940280
	v_mov_b32_e32 v98, 0                                       // 000000002CC4: 7EC40280
	v_mov_b32_e32 v75, 0                                       // 000000002CC8: 7E960280
	v_mov_b32_e32 v99, 0                                       // 000000002CCC: 7EC60280
	v_mov_b32_e32 v76, 0                                       // 000000002CD0: 7E980280
	v_mov_b32_e32 v100, 0                                      // 000000002CD4: 7EC80280
	v_mov_b32_e32 v77, 0                                       // 000000002CD8: 7E9A0280
	v_mov_b32_e32 v101, 0                                      // 000000002CDC: 7ECA0280
	v_mov_b32_e32 v78, 0                                       // 000000002CE0: 7E9C0280
	v_mov_b32_e32 v102, 0                                      // 000000002CE4: 7ECC0280
	v_mov_b32_e32 v79, 0                                       // 000000002CE8: 7E9E0280
	v_mov_b32_e32 v103, 0                                      // 000000002CEC: 7ECE0280
	v_mov_b32_e32 v80, 0                                       // 000000002CF0: 7EA00280
	v_mov_b32_e32 v104, 0                                      // 000000002CF4: 7ED00280
	v_mov_b32_e32 v81, 0                                       // 000000002CF8: 7EA20280
	v_mov_b32_e32 v105, 0                                      // 000000002CFC: 7ED20280
	v_mov_b32_e32 v82, 0                                       // 000000002D00: 7EA40280
	v_mov_b32_e32 v106, 0                                      // 000000002D04: 7ED40280
	v_mov_b32_e32 v83, 0                                       // 000000002D08: 7EA60280
	v_mov_b32_e32 v107, 0                                      // 000000002D0C: 7ED60280
	v_mov_b32_e32 v84, 0                                       // 000000002D10: 7EA80280
	v_mov_b32_e32 v108, 0                                      // 000000002D14: 7ED80280
	v_mov_b32_e32 v85, 0                                       // 000000002D18: 7EAA0280
	v_mov_b32_e32 v109, 0                                      // 000000002D1C: 7EDA0280
	v_mov_b32_e32 v86, 0                                       // 000000002D20: 7EAC0280
	v_mov_b32_e32 v110, 0                                      // 000000002D24: 7EDC0280
	v_mov_b32_e32 v87, 0                                       // 000000002D28: 7EAE0280
	v_mov_b32_e32 v111, 0                                      // 000000002D2C: 7EDE0280
	v_mov_b32_e32 v88, 0                                       // 000000002D30: 7EB00280
	v_mov_b32_e32 v112, 0                                      // 000000002D34: 7EE00280
	v_mov_b32_e32 v89, 0                                       // 000000002D38: 7EB20280
	v_mov_b32_e32 v113, 0                                      // 000000002D3C: 7EE20280
	v_mov_b32_e32 v90, 0                                       // 000000002D40: 7EB40280
	v_mov_b32_e32 v114, 0                                      // 000000002D44: 7EE40280
	v_mov_b32_e32 v91, 0                                       // 000000002D48: 7EB60280
	v_mov_b32_e32 v115, 0                                      // 000000002D4C: 7EE60280
	s_mul_i32 s60, s2, 0x80                                    // 000000002D50: 923CFF02 00000080
	s_cmp_eq_u32 s88, 0                                        // 000000002D58: BF068058
	s_cselect_b32 s61, 1, 2                                    // 000000002D5C: 853D8281
	s_mul_i32 s60, s60, s61                                    // 000000002D60: 923C3D3C
	s_mov_b32 s90, s8                                          // 000000002D64: BEDA0008
	s_mov_b32 s91, s9                                          // 000000002D68: BEDB0009
	s_add_u32 s8, s60, s8                                      // 000000002D6C: 8008083C
	s_addc_u32 s9, 0, s9                                       // 000000002D70: 82090980
	v_lshrrev_b32_e32 v4, 4, v0                                // 000000002D74: 20080084
	v_mul_lo_u32 v20, 34, v4                                   // 000000002D78: D2850014 000208A2
	v_and_b32_e32 v4, 15, v0                                   // 000000002D80: 2608008F
	v_mul_lo_u32 v5, 2, v4                                     // 000000002D84: D2850005 00020882
	v_add_u32_e32 v20, v5, v20                                 // 000000002D8C: 68282905
	s_mul_i32 s60, s7, 0x88                                    // 000000002D90: 923CFF07 00000088
	v_add_u32_e32 v20, s60, v20                                // 000000002D98: 6828283C
	v_lshlrev_b32_e32 v20, 2, v20                              // 000000002D9C: 24282882
	v_and_b32_e32 v4, 31, v0                                   // 000000002DA0: 2608009F
	v_lshrrev_b32_e32 v4, 1, v4                                // 000000002DA4: 20080881
	v_mul_lo_u32 v21, 34, v4                                   // 000000002DA8: D2850015 000208A2
	v_lshrrev_b32_e32 v4, 5, v0                                // 000000002DB0: 20080085
	v_mul_lo_u32 v4, 8, v4                                     // 000000002DB4: D2850004 00020888
	v_add_u32_e32 v21, v21, v4                                 // 000000002DBC: 682A0915
	v_and_b32_e32 v5, 1, v0                                    // 000000002DC0: 260A0081
	v_add_u32_e32 v21, v5, v21                                 // 000000002DC4: 682A2B05
	s_mul_i32 s60, s7, 2                                       // 000000002DC8: 923C8207
	v_add_u32_e32 v21, s60, v21                                // 000000002DCC: 682A2A3C
	v_lshlrev_b32_e32 v21, 2, v21                              // 000000002DD0: 242A2A82
	s_mul_i32 s60, s7, 0xc20                                   // 000000002DD4: 923CFF07 00000C20
	s_add_u32 s48, 0, s60                                      // 000000002DDC: 80303C80
	s_add_u32 s49, 0x3080, s48                                 // 000000002DE0: 803130FF 00003080
	v_lshrrev_b32_e32 v4, 4, v0                                // 000000002DE8: 20080084
	v_lshlrev_b32_e32 v5, 2, v4                                // 000000002DEC: 240A0882
	v_and_b32_e32 v4, 15, v0                                   // 000000002DF0: 2608008F
	v_lshrrev_b32_e32 v6, 2, v4                                // 000000002DF4: 200C0882
	v_lshlrev_b32_e32 v6, 5, v6                                // 000000002DF8: 240C0C85
	v_add_u32_e32 v5, v6, v5                                   // 000000002DFC: 680A0B06
	v_and_b32_e32 v4, 3, v0                                    // 000000002E00: 26080083
	v_mul_u32_u24_e32 v6, 0x308, v4                            // 000000002E04: 100C08FF 00000308
	v_add_u32_e32 v5, v6, v5                                   // 000000002E0C: 680A0B06
	v_lshlrev_b32_e32 v2, 2, v5                                // 000000002E10: 24040A82
	s_waitcnt lgkmcnt(0)                                       // 000000002E14: BF8CC07F
	s_mul_i32 s60, s2, 64                                      // 000000002E18: 923CC002
	s_mul_i32 s60, s60, s69                                    // 000000002E1C: 923C453C
	s_mul_i32 s61, s5, s72                                     // 000000002E20: 923D4805
	s_add_u32 s60, s61, s60                                    // 000000002E24: 803C3C3D
	s_add_u32 s24, s60, s24                                    // 000000002E28: 8018183C
	s_addc_u32 s25, 0, s25                                     // 000000002E2C: 82191980
	s_lshr_b32 s60, s64, s88                                   // 000000002E30: 8F3C5840
	s_mul_i32 s60, s4, s60                                     // 000000002E34: 923C3C04
	s_lshr_b32 s60, s60, 7                                     // 000000002E38: 8F3C873C
	s_mul_i32 s60, s60, 0x800                                  // 000000002E3C: 923CFF3C 00000800
	s_add_u32 s24, s60, s24                                    // 000000002E44: 8018183C
	s_addc_u32 s25, 0, s25                                     // 000000002E48: 82191980
	s_lshr_b32 s60, s69, s88                                   // 000000002E4C: 8F3C5845
	s_mul_i32 s60, s4, s60                                     // 000000002E50: 923C3C04
	s_add_u32 s20, s60, s20                                    // 000000002E54: 8014143C
	s_addc_u32 s21, 0, s21                                     // 000000002E58: 82151580
	s_mul_i32 s60, s7, 16                                      // 000000002E5C: 923C9007
	s_mul_i32 s60, s60, s69                                    // 000000002E60: 923C453C
	v_lshlrev_b32_e32 v64, 4, v0                               // 000000002E64: 24800084
	v_add_u32_e32 v64, s60, v64                                // 000000002E68: 6880803C
	s_mul_i32 s60, 64, s69                                     // 000000002E6C: 923C45C0
	s_mov_b32 s84, s24                                         // 000000002E70: BED40018
	s_mov_b32 s85, s25                                         // 000000002E74: BED50019
	s_mov_b32 s86, s26                                         // 000000002E78: BED6001A
	s_mov_b32 s87, s27                                         // 000000002E7C: BED7001B
	s_mul_i32 s60, s69, s65                                    // 000000002E80: 923C4145
	s_add_u32 s84, s60, s84                                    // 000000002E84: 8054543C
	s_addc_u32 s85, 0, s85                                     // 000000002E88: 82555580
	v_lshrrev_b32_e32 v4, 4, v0                                // 000000002E8C: 20080084
	v_lshlrev_b32_e32 v5, 2, v4                                // 000000002E90: 240A0882
	v_and_b32_e32 v4, 15, v0                                   // 000000002E94: 2608008F
	v_lshrrev_b32_e32 v6, 2, v4                                // 000000002E98: 200C0882
	v_lshlrev_b32_e32 v6, 6, v6                                // 000000002E9C: 240C0C86
	v_add_u32_e32 v5, v6, v5                                   // 000000002EA0: 680A0B06
	v_and_b32_e32 v4, 3, v0                                    // 000000002EA4: 26080083
	v_add_u32_e32 v5, v4, v5                                   // 000000002EA8: 680A0B04
	v_lshlrev_b32_e32 v22, 2, v5                               // 000000002EAC: 242C0A82
	s_mul_i32 s60, s7, 16                                      // 000000002EB0: 923C9007
	s_mul_i32 s60, s60, 4                                      // 000000002EB4: 923C843C
	v_add_u32_e32 v22, s60, v22                                // 000000002EB8: 682C2C3C
	s_mul_i32 s60, s2, 64                                      // 000000002EBC: 923CC002
	s_mul_i32 s60, s60, 4                                      // 000000002EC0: 923C843C
	s_mul_i32 s61, s5, s74                                     // 000000002EC4: 923D4A05
	s_add_u32 s61, s61, s60                                    // 000000002EC8: 803D3C3D
	s_add_u32 s32, s61, s32                                    // 000000002ECC: 8020203D
	s_addc_u32 s33, 0, s33                                     // 000000002ED0: 82212180
	s_mov_b32 s57, 0x80                                        // 000000002ED4: BEB900FF 00000080
	s_mov_b32 s58, 0x800                                       // 000000002EDC: BEBA00FF 00000800
	s_mov_b32 s83, s58                                         // 000000002EE4: BED3003A
	s_mov_b32 s52, 0x7060302                                   // 000000002EE8: BEB400FF 07060302
	s_mov_b32 s53, 0x400                                       // 000000002EF0: BEB500FF 00000400
	s_mov_b32 s54, 0x40100                                     // 000000002EF8: BEB600FF 00040100
	s_mov_b32 s55, 0x4020100                                   // 000000002F00: BEB700FF 04020100
	s_mov_b32 s6, 0x3fb8aa3b                                   // 000000002F08: BE8600FF 3FB8AA3B
	s_mov_b32 s78, 0xbd92220c                                  // 000000002F10: BECE00FF BD92220C
	s_mov_b32 s79, 0xbd92220c                                  // 000000002F18: BECF00FF BD92220C
	s_mov_b32 m0, s48                                          // 000000002F20: BEFC0030
	v_mov_b32_e32 v1, 0xbfcc4231                               // 000000002F24: 7E0202FF BFCC4231
	v_mov_b32_e32 v17, 0xffff0000                              // 000000002F2C: 7E2202FF FFFF0000
	v_mov_b32_e32 v18, 0x7fff0000                              // 000000002F34: 7E2402FF 7FFF0000
	v_mov_b32_e32 v19, 0x7fff                                  // 000000002F3C: 7E2602FF 00007FFF
	s_waitcnt vmcnt(0) expcnt(0) lgkmcnt(0)                    // 000000002F44: BF8C0000
	v_lshrrev_b32_e32 v4, 5, v0                                // 000000002F48: 20080085
	v_xor_b32_e32 v5, 1, v4                                    // 000000002F4C: 2A0A0881
	v_readlane_b32 s82, v3, 0                                  // 000000002F50: D2890052 00010103
	s_and_b32 s82, s82, 0xffffff                               // 000000002F58: 8652FF52 00FFFFFF
	v_mul_lo_u32 v6, v5, s82                                   // 000000002F60: D2850006 0000A505
	v_readlane_b32 s82, v3, 1                                  // 000000002F68: D2890052 00010303
	s_and_b32 s82, s82, 0xffffff                               // 000000002F70: 8652FF52 00FFFFFF
	v_mul_lo_u32 v7, v4, s82                                   // 000000002F78: D2850007 0000A504
	v_add_u32_e32 v52, v6, v7                                  // 000000002F80: 68680F06
	v_mul_lo_u32 v52, v52, s68                                 // 000000002F84: D2850034 00008934
	v_readlane_b32 s82, v3, 2                                  // 000000002F8C: D2890052 00010503
	s_and_b32 s82, s82, 0xffffff                               // 000000002F94: 8652FF52 00FFFFFF
	v_mul_lo_u32 v6, v5, s82                                   // 000000002F9C: D2850006 0000A505
	v_readlane_b32 s82, v3, 3                                  // 000000002FA4: D2890052 00010703
	s_and_b32 s82, s82, 0xffffff                               // 000000002FAC: 8652FF52 00FFFFFF
	v_mul_lo_u32 v7, v4, s82                                   // 000000002FB4: D2850007 0000A504
	v_add_u32_e32 v53, v6, v7                                  // 000000002FBC: 686A0F06
	v_mul_lo_u32 v53, v53, s68                                 // 000000002FC0: D2850035 00008935
	v_readlane_b32 s82, v3, 4                                  // 000000002FC8: D2890052 00010903
	s_and_b32 s82, s82, 0xffffff                               // 000000002FD0: 8652FF52 00FFFFFF
	v_mul_lo_u32 v6, v5, s82                                   // 000000002FD8: D2850006 0000A505
	v_readlane_b32 s82, v3, 5                                  // 000000002FE0: D2890052 00010B03
	s_and_b32 s82, s82, 0xffffff                               // 000000002FE8: 8652FF52 00FFFFFF
	v_mul_lo_u32 v7, v4, s82                                   // 000000002FF0: D2850007 0000A504
	v_add_u32_e32 v54, v6, v7                                  // 000000002FF8: 686C0F06
	v_mul_lo_u32 v54, v54, s68                                 // 000000002FFC: D2850036 00008936
	v_readlane_b32 s82, v3, 6                                  // 000000003004: D2890052 00010D03
	s_and_b32 s82, s82, 0xffffff                               // 00000000300C: 8652FF52 00FFFFFF
	v_mul_lo_u32 v6, v5, s82                                   // 000000003014: D2850006 0000A505
	v_readlane_b32 s82, v3, 7                                  // 00000000301C: D2890052 00010F03
	s_and_b32 s82, s82, 0xffffff                               // 000000003024: 8652FF52 00FFFFFF
	v_mul_lo_u32 v7, v4, s82                                   // 00000000302C: D2850007 0000A504
	v_add_u32_e32 v55, v6, v7                                  // 000000003034: 686E0F06
	v_mul_lo_u32 v55, v55, s68                                 // 000000003038: D2850037 00008937
	v_readlane_b32 s82, v3, 8                                  // 000000003040: D2890052 00011103
	s_and_b32 s82, s82, 0xffffff                               // 000000003048: 8652FF52 00FFFFFF
	v_mul_lo_u32 v6, v5, s82                                   // 000000003050: D2850006 0000A505
	v_readlane_b32 s82, v3, 9                                  // 000000003058: D2890052 00011303
	s_and_b32 s82, s82, 0xffffff                               // 000000003060: 8652FF52 00FFFFFF
	v_mul_lo_u32 v7, v4, s82                                   // 000000003068: D2850007 0000A504
	v_add_u32_e32 v56, v6, v7                                  // 000000003070: 68700F06
	v_mul_lo_u32 v56, v56, s68                                 // 000000003074: D2850038 00008938
	v_readlane_b32 s82, v3, 10                                 // 00000000307C: D2890052 00011503
	s_and_b32 s82, s82, 0xffffff                               // 000000003084: 8652FF52 00FFFFFF
	v_mul_lo_u32 v6, v5, s82                                   // 00000000308C: D2850006 0000A505
	v_readlane_b32 s82, v3, 11                                 // 000000003094: D2890052 00011703
	s_and_b32 s82, s82, 0xffffff                               // 00000000309C: 8652FF52 00FFFFFF
	v_mul_lo_u32 v7, v4, s82                                   // 0000000030A4: D2850007 0000A504
	v_add_u32_e32 v57, v6, v7                                  // 0000000030AC: 68720F06
	v_mul_lo_u32 v57, v57, s68                                 // 0000000030B0: D2850039 00008939
	v_readlane_b32 s82, v3, 12                                 // 0000000030B8: D2890052 00011903
	s_and_b32 s82, s82, 0xffffff                               // 0000000030C0: 8652FF52 00FFFFFF
	v_mul_lo_u32 v6, v5, s82                                   // 0000000030C8: D2850006 0000A505
	v_readlane_b32 s82, v3, 13                                 // 0000000030D0: D2890052 00011B03
	s_and_b32 s82, s82, 0xffffff                               // 0000000030D8: 8652FF52 00FFFFFF
	v_mul_lo_u32 v7, v4, s82                                   // 0000000030E0: D2850007 0000A504
	v_add_u32_e32 v58, v6, v7                                  // 0000000030E8: 68740F06
	v_mul_lo_u32 v58, v58, s68                                 // 0000000030EC: D285003A 0000893A
	v_readlane_b32 s82, v3, 14                                 // 0000000030F4: D2890052 00011D03
	s_and_b32 s82, s82, 0xffffff                               // 0000000030FC: 8652FF52 00FFFFFF
	v_mul_lo_u32 v6, v5, s82                                   // 000000003104: D2850006 0000A505
	v_readlane_b32 s82, v3, 15                                 // 00000000310C: D2890052 00011F03
	s_and_b32 s82, s82, 0xffffff                               // 000000003114: 8652FF52 00FFFFFF
	v_mul_lo_u32 v7, v4, s82                                   // 00000000311C: D2850007 0000A504
	v_add_u32_e32 v59, v6, v7                                  // 000000003124: 68760F06
	v_mul_lo_u32 v59, v59, s68                                 // 000000003128: D285003B 0000893B
	v_readlane_b32 s82, v3, 16                                 // 000000003130: D2890052 00012103
	s_and_b32 s82, s82, 0xffffff                               // 000000003138: 8652FF52 00FFFFFF
	v_mul_lo_u32 v6, v5, s82                                   // 000000003140: D2850006 0000A505
	v_readlane_b32 s82, v3, 17                                 // 000000003148: D2890052 00012303
	s_and_b32 s82, s82, 0xffffff                               // 000000003150: 8652FF52 00FFFFFF
	v_mul_lo_u32 v7, v4, s82                                   // 000000003158: D2850007 0000A504
	v_add_u32_e32 v60, v6, v7                                  // 000000003160: 68780F06
	v_mul_lo_u32 v60, v60, s68                                 // 000000003164: D285003C 0000893C
	v_readlane_b32 s82, v3, 18                                 // 00000000316C: D2890052 00012503
	s_and_b32 s82, s82, 0xffffff                               // 000000003174: 8652FF52 00FFFFFF
	v_mul_lo_u32 v6, v5, s82                                   // 00000000317C: D2850006 0000A505
	v_readlane_b32 s82, v3, 19                                 // 000000003184: D2890052 00012703
	s_and_b32 s82, s82, 0xffffff                               // 00000000318C: 8652FF52 00FFFFFF
	v_mul_lo_u32 v7, v4, s82                                   // 000000003194: D2850007 0000A504
	v_add_u32_e32 v61, v6, v7                                  // 00000000319C: 687A0F06
	v_mul_lo_u32 v61, v61, s68                                 // 0000000031A0: D285003D 0000893D
	v_readlane_b32 s82, v3, 20                                 // 0000000031A8: D2890052 00012903
	s_and_b32 s82, s82, 0xffffff                               // 0000000031B0: 8652FF52 00FFFFFF
	v_mul_lo_u32 v6, v5, s82                                   // 0000000031B8: D2850006 0000A505
	v_readlane_b32 s82, v3, 21                                 // 0000000031C0: D2890052 00012B03
	s_and_b32 s82, s82, 0xffffff                               // 0000000031C8: 8652FF52 00FFFFFF
	v_mul_lo_u32 v7, v4, s82                                   // 0000000031D0: D2850007 0000A504
	v_add_u32_e32 v62, v6, v7                                  // 0000000031D8: 687C0F06
	v_mul_lo_u32 v62, v62, s68                                 // 0000000031DC: D285003E 0000893E
	v_readlane_b32 s82, v3, 22                                 // 0000000031E4: D2890052 00012D03
	s_and_b32 s82, s82, 0xffffff                               // 0000000031EC: 8652FF52 00FFFFFF
	v_mul_lo_u32 v6, v5, s82                                   // 0000000031F4: D2850006 0000A505
	v_readlane_b32 s82, v3, 23                                 // 0000000031FC: D2890052 00012F03
	s_and_b32 s82, s82, 0xffffff                               // 000000003204: 8652FF52 00FFFFFF
	v_mul_lo_u32 v7, v4, s82                                   // 00000000320C: D2850007 0000A504
	v_add_u32_e32 v63, v6, v7                                  // 000000003214: 687E0F06
	v_mul_lo_u32 v63, v63, s68                                 // 000000003218: D285003F 0000893F
	v_and_b32_e32 v4, 31, v0                                   // 000000003220: 2608009F
	v_lshlrev_b32_e32 v4, 2, v4                                // 000000003224: 24080882
	v_add_u32_e32 v52, v52, v4                                 // 000000003228: 68680934
	v_add_u32_e32 v53, v53, v4                                 // 00000000322C: 686A0935
	v_add_u32_e32 v54, v54, v4                                 // 000000003230: 686C0936
	v_add_u32_e32 v55, v55, v4                                 // 000000003234: 686E0937
	v_add_u32_e32 v56, v56, v4                                 // 000000003238: 68700938
	v_add_u32_e32 v57, v57, v4                                 // 00000000323C: 68720939
	v_add_u32_e32 v58, v58, v4                                 // 000000003240: 6874093A
	v_add_u32_e32 v59, v59, v4                                 // 000000003244: 6876093B
	v_add_u32_e32 v60, v60, v4                                 // 000000003248: 6878093C
	v_add_u32_e32 v61, v61, v4                                 // 00000000324C: 687A093D
	v_add_u32_e32 v62, v62, v4                                 // 000000003250: 687C093E
	v_add_u32_e32 v63, v63, v4                                 // 000000003254: 687E093F
	v_and_b32_e32 v28, 0xffffff, v28                           // 000000003258: 263838FF 00FFFFFF
	v_lshlrev_b32_e32 v28, 2, v28                              // 000000003260: 24383882
	v_and_b32_e32 v29, 0xffffff, v29                           // 000000003264: 263A3AFF 00FFFFFF
	v_lshlrev_b32_e32 v29, 2, v29                              // 00000000326C: 243A3A82
	v_and_b32_e32 v30, 0xffffff, v30                           // 000000003270: 263C3CFF 00FFFFFF
	v_lshlrev_b32_e32 v30, 2, v30                              // 000000003278: 243C3C82
	v_and_b32_e32 v31, 0xffffff, v31                           // 00000000327C: 263E3EFF 00FFFFFF
	v_lshlrev_b32_e32 v31, 2, v31                              // 000000003284: 243E3E82
	v_and_b32_e32 v32, 0xffffff, v32                           // 000000003288: 264040FF 00FFFFFF
	v_lshlrev_b32_e32 v32, 2, v32                              // 000000003290: 24404082
	v_and_b32_e32 v33, 0xffffff, v33                           // 000000003294: 264242FF 00FFFFFF
	v_lshlrev_b32_e32 v33, 2, v33                              // 00000000329C: 24424282
	s_lshl_b32 s3, s66, 2                                      // 0000000032A0: 8E038242
	buffer_load_dword v34, v28, s[28:31], 0 offen              // 0000000032A4: E0501000 8007221C
	buffer_load_dword v35, v29, s[28:31], 0 offen              // 0000000032AC: E0501000 8007231D
	buffer_load_dword v36, v30, s[28:31], 0 offen              // 0000000032B4: E0501000 8007241E
	buffer_load_dword v37, v31, s[28:31], 0 offen              // 0000000032BC: E0501000 8007251F
	buffer_load_dword v38, v32, s[28:31], 0 offen              // 0000000032C4: E0501000 80072620
	buffer_load_dword v39, v33, s[28:31], 0 offen              // 0000000032CC: E0501000 80072721
	buffer_load_dword v24, v22, s[32:35], 0 offen              // 0000000032D4: E0501000 80081816
	s_mul_i32 s60, 4, s65                                      // 0000000032DC: 923C4184
	s_add_u32 s32, s60, s32                                    // 0000000032E0: 8020203C
	s_addc_u32 s33, 0, s33                                     // 0000000032E4: 82212180
	buffer_load_dword v26, v22, s[32:35], 0 offen              // 0000000032E8: E0501000 80081A16
	buffer_load_dword v52, s[20:23], 0 offen lds               // 0000000032F0: E0511000 80050034
	s_add_u32 m0, 0x100, s48                                   // 0000000032F8: 807C30FF 00000100
	buffer_load_dword v53, s[20:23], 0 offen lds               // 000000003300: E0511000 80050035
	s_add_u32 m0, 0x200, s48                                   // 000000003308: 807C30FF 00000200
	buffer_load_dword v54, s[20:23], 0 offen lds               // 000000003310: E0511000 80050036
	s_add_u32 m0, 0x300, s48                                   // 000000003318: 807C30FF 00000300
	;; [unrolled: 2-line block ×5, first 2 shown]
	buffer_load_dword v58, s[20:23], 0 offen lds               // 000000003350: E0511000 8005003A
	s_add_u32 m0, 0x700, s48                                   // 000000003358: 807C30FF 00000700
	buffer_load_dword v59, s[20:23], 0 offen lds               // 000000003360: E0511000 8005003B
	s_add_u32 m0, 0x800, s48                                   // 000000003368: 807C30FF 00000800
	buffer_load_dword v60, s[20:23], 0 offen lds               // 000000003370: E0511000 8005003C
	s_add_u32 m0, 0x900, s48                                   // 000000003378: 807C30FF 00000900
	buffer_load_dword v61, s[20:23], 0 offen lds               // 000000003380: E0511000 8005003D
	s_add_u32 m0, 0xa00, s48                                   // 000000003388: 807C30FF 00000A00
	buffer_load_dword v62, s[20:23], 0 offen lds               // 000000003390: E0511000 8005003E
	s_add_u32 m0, 0xb00, s48                                   // 000000003398: 807C30FF 00000B00
	buffer_load_dword v63, s[20:23], 0 offen lds               // 0000000033A0: E0511000 8005003F
	s_add_u32 m0, 0, s49                                       // 0000000033A8: 807C3180
	s_add_u32 s20, s57, s20                                    // 0000000033AC: 80141439
	s_addc_u32 s21, 0, s21                                     // 0000000033B0: 82151580
	buffer_load_dword v52, s[20:23], 0 offen lds               // 0000000033B4: E0511000 80050034
	s_add_u32 m0, 0x100, s49                                   // 0000000033BC: 807C31FF 00000100
	buffer_load_dword v53, s[20:23], 0 offen lds               // 0000000033C4: E0511000 80050035
	s_add_u32 m0, 0x200, s49                                   // 0000000033CC: 807C31FF 00000200
	buffer_load_dword v54, s[20:23], 0 offen lds               // 0000000033D4: E0511000 80050036
	s_add_u32 m0, 0x300, s49                                   // 0000000033DC: 807C31FF 00000300
	buffer_load_dword v55, s[20:23], 0 offen lds               // 0000000033E4: E0511000 80050037
	s_add_u32 m0, 0x400, s49                                   // 0000000033EC: 807C31FF 00000400
	buffer_load_dword v56, s[20:23], 0 offen lds               // 0000000033F4: E0511000 80050038
	s_add_u32 m0, 0x500, s49                                   // 0000000033FC: 807C31FF 00000500
	buffer_load_dword v57, s[20:23], 0 offen lds               // 000000003404: E0511000 80050039
	s_add_u32 m0, 0x600, s49                                   // 00000000340C: 807C31FF 00000600
	buffer_load_dword v58, s[20:23], 0 offen lds               // 000000003414: E0511000 8005003A
	s_add_u32 m0, 0x700, s49                                   // 00000000341C: 807C31FF 00000700
	buffer_load_dword v59, s[20:23], 0 offen lds               // 000000003424: E0511000 8005003B
	s_add_u32 m0, 0x800, s49                                   // 00000000342C: 807C31FF 00000800
	buffer_load_dword v60, s[20:23], 0 offen lds               // 000000003434: E0511000 8005003C
	s_add_u32 m0, 0x900, s49                                   // 00000000343C: 807C31FF 00000900
	buffer_load_dword v61, s[20:23], 0 offen lds               // 000000003444: E0511000 8005003D
	s_add_u32 m0, 0xa00, s49                                   // 00000000344C: 807C31FF 00000A00
	buffer_load_dword v62, s[20:23], 0 offen lds               // 000000003454: E0511000 8005003E
	s_add_u32 m0, 0xb00, s49                                   // 00000000345C: 807C31FF 00000B00
	buffer_load_dword v63, s[20:23], 0 offen lds               // 000000003464: E0511000 8005003F
	s_add_u32 m0, 0, s48                                       // 00000000346C: 807C3080
	s_add_u32 s20, s57, s20                                    // 000000003470: 80141439
	s_addc_u32 s21, 0, s21                                     // 000000003474: 82151580
	buffer_load_dwordx4 a[96:99], v64, s[24:27], 0 offen       // 000000003478: E05C1000 80866040
	buffer_load_dwordx4 a[100:103], v64, s[24:27], 0 offen offset:1024// 000000003480: E05C1400 80866440
	s_add_u32 s24, s58, s24                                    // 000000003488: 8018183A
	s_addc_u32 s25, 0, s25                                     // 00000000348C: 82191980
	s_waitcnt vmcnt(14)                                        // 000000003490: BF8C0F7E
	s_barrier                                                  // 000000003494: BF8A0000
	ds_read_b128 a[0:3], v2                                    // 000000003498: DBFE0000 00000002
	ds_read_b128 a[4:7], v2 offset:64                          // 0000000034A0: DBFE0040 04000002
	ds_read_b128 a[8:11], v2 offset:512                        // 0000000034A8: DBFE0200 08000002
	ds_read_b128 a[12:15], v2 offset:576                       // 0000000034B0: DBFE0240 0C000002
	ds_read_b128 a[16:19], v2 offset:1024                      // 0000000034B8: DBFE0400 10000002
	ds_read_b128 a[20:23], v2 offset:1088                      // 0000000034C0: DBFE0440 14000002
	ds_read_b128 a[24:27], v2 offset:1536                      // 0000000034C8: DBFE0600 18000002
	ds_read_b128 a[28:31], v2 offset:1600                      // 0000000034D0: DBFE0640 1C000002
	ds_read_b128 a[32:35], v2 offset:2048                      // 0000000034D8: DBFE0800 20000002
	ds_read_b128 a[36:39], v2 offset:2112                      // 0000000034E0: DBFE0840 24000002
	ds_read_b128 a[40:43], v2 offset:2560                      // 0000000034E8: DBFE0A00 28000002
	ds_read_b128 a[44:47], v2 offset:2624                      // 0000000034F0: DBFE0A40 2C000002
	s_cmp_lt_i32 s7, 2                                         // 0000000034F8: BF048207
	s_cbranch_scc0 label_0E8F                                  // 0000000034FC: BF840BCC

0000000000003500 <label_02C0>:
	s_waitcnt vmcnt(0) lgkmcnt(0)                              // 000000003500: BF8C0070
	s_barrier                                                  // 000000003504: BF8A0000
	v_mfma_f32_16x16x32_fp8_fp8 v[68:71], a[96:97], a[0:1], v[68:71]// 000000003508: D3F30044 1D120160
	v_mfma_f32_16x16x32_fp8_fp8 v[68:71], a[98:99], a[2:3], v[68:71]// 000000003510: D3F30044 1D120562
	buffer_load_dwordx4 a[104:107], v64, s[84:87], 0 offen     // 000000003518: E05C1000 80956840
	v_mfma_f32_16x16x32_fp8_fp8 v[68:71], a[100:101], a[4:5], v[68:71]// 000000003520: D3F30044 1D120964
	v_mfma_f32_16x16x32_fp8_fp8 v[68:71], a[102:103], a[6:7], v[68:71]// 000000003528: D3F30044 1D120D66
	v_mfma_f32_16x16x32_fp8_fp8 v[72:75], a[96:97], a[8:9], v[72:75]// 000000003530: D3F30048 1D221160
	v_mfma_f32_16x16x32_fp8_fp8 v[72:75], a[98:99], a[10:11], v[72:75]// 000000003538: D3F30048 1D221562
	buffer_load_dwordx4 a[108:111], v64, s[84:87], 0 offen offset:1024// 000000003540: E05C1400 80956C40
	buffer_load_dword v52, s[20:23], 0 offen lds               // 000000003548: E0511000 80050034
	s_add_u32 m0, 0x100, s48                                   // 000000003550: 807C30FF 00000100
	v_mfma_f32_16x16x32_fp8_fp8 v[72:75], a[100:101], a[12:13], v[72:75]// 000000003558: D3F30048 1D221964
	v_mfma_f32_16x16x32_fp8_fp8 v[72:75], a[102:103], a[14:15], v[72:75]// 000000003560: D3F30048 1D221D66
	buffer_load_dword v53, s[20:23], 0 offen lds               // 000000003568: E0511000 80050035
	s_add_u32 m0, 0x200, s48                                   // 000000003570: 807C30FF 00000200
	v_mfma_f32_16x16x32_fp8_fp8 v[76:79], a[96:97], a[16:17], v[76:79]// 000000003578: D3F3004C 1D322160
	v_mfma_f32_16x16x32_fp8_fp8 v[76:79], a[98:99], a[18:19], v[76:79]// 000000003580: D3F3004C 1D322562
	buffer_load_dword v54, s[20:23], 0 offen lds               // 000000003588: E0511000 80050036
	s_add_u32 m0, 0x300, s48                                   // 000000003590: 807C30FF 00000300
	v_mfma_f32_16x16x32_fp8_fp8 v[76:79], a[100:101], a[20:21], v[76:79]// 000000003598: D3F3004C 1D322964
	v_mfma_f32_16x16x32_fp8_fp8 v[76:79], a[102:103], a[22:23], v[76:79]// 0000000035A0: D3F3004C 1D322D66
	buffer_load_dword v55, s[20:23], 0 offen lds               // 0000000035A8: E0511000 80050037
	s_add_u32 m0, 0x400, s48                                   // 0000000035B0: 807C30FF 00000400
	v_mfma_f32_16x16x32_fp8_fp8 v[80:83], a[96:97], a[24:25], v[80:83]// 0000000035B8: D3F30050 1D423160
	v_mfma_f32_16x16x32_fp8_fp8 v[80:83], a[98:99], a[26:27], v[80:83]// 0000000035C0: D3F30050 1D423562
	buffer_load_dword v56, s[20:23], 0 offen lds               // 0000000035C8: E0511000 80050038
	s_add_u32 m0, 0x500, s48                                   // 0000000035D0: 807C30FF 00000500
	v_mfma_f32_16x16x32_fp8_fp8 v[80:83], a[100:101], a[28:29], v[80:83]// 0000000035D8: D3F30050 1D423964
	v_mfma_f32_16x16x32_fp8_fp8 v[80:83], a[102:103], a[30:31], v[80:83]// 0000000035E0: D3F30050 1D423D66
	buffer_load_dword v57, s[20:23], 0 offen lds               // 0000000035E8: E0511000 80050039
	s_add_u32 m0, 0x600, s48                                   // 0000000035F0: 807C30FF 00000600
	v_mfma_f32_16x16x32_fp8_fp8 v[84:87], a[96:97], a[32:33], v[84:87]// 0000000035F8: D3F30054 1D524160
	v_mfma_f32_16x16x32_fp8_fp8 v[84:87], a[98:99], a[34:35], v[84:87]// 000000003600: D3F30054 1D524562
	buffer_load_dword v58, s[20:23], 0 offen lds               // 000000003608: E0511000 8005003A
	s_add_u32 m0, 0x700, s48                                   // 000000003610: 807C30FF 00000700
	v_mfma_f32_16x16x32_fp8_fp8 v[84:87], a[100:101], a[36:37], v[84:87]// 000000003618: D3F30054 1D524964
	v_mfma_f32_16x16x32_fp8_fp8 v[84:87], a[102:103], a[38:39], v[84:87]// 000000003620: D3F30054 1D524D66
	buffer_load_dword v59, s[20:23], 0 offen lds               // 000000003628: E0511000 8005003B
	s_add_u32 m0, 0x800, s48                                   // 000000003630: 807C30FF 00000800
	v_mfma_f32_16x16x32_fp8_fp8 v[88:91], a[96:97], a[40:41], v[88:91]// 000000003638: D3F30058 1D625160
	v_mfma_f32_16x16x32_fp8_fp8 v[88:91], a[98:99], a[42:43], v[88:91]// 000000003640: D3F30058 1D625562
	buffer_load_dword v60, s[20:23], 0 offen lds               // 000000003648: E0511000 8005003C
	s_add_u32 m0, 0x900, s48                                   // 000000003650: 807C30FF 00000900
	s_add_u32 s60, 0x80, s80                                   // 000000003658: 803C50FF 00000080
	s_cmp_lt_u32 s60, s81                                      // 000000003660: BF0A513C
	s_cselect_b32 s83, s83, 0                                  // 000000003664: 85538053
	v_mfma_f32_16x16x32_fp8_fp8 v[88:91], a[100:101], a[44:45], v[88:91]// 000000003668: D3F30058 1D625964
	v_mfma_f32_16x16x32_fp8_fp8 v[88:91], a[102:103], a[46:47], v[88:91]// 000000003670: D3F30058 1D625D66
	buffer_load_dword v61, s[20:23], 0 offen lds               // 000000003678: E0511000 8005003D
	s_add_u32 m0, 0xa00, s48                                   // 000000003680: 807C30FF 00000A00
	buffer_load_dword v62, s[20:23], 0 offen lds               // 000000003688: E0511000 8005003E
	s_add_u32 m0, 0xb00, s48                                   // 000000003690: 807C30FF 00000B00
	buffer_load_dword v63, s[20:23], 0 offen lds               // 000000003698: E0511000 8005003F
	s_add_u32 m0, 0, s49                                       // 0000000036A0: 807C3180
	s_waitcnt vmcnt(12)                                        // 0000000036A4: BF8C0F7C
	v_mfma_f32_16x16x32_fp8_fp8 v[92:95], a[104:105], a[0:1], v[92:95]// 0000000036A8: D3F3005C 1D720168
	v_mfma_f32_16x16x32_fp8_fp8 v[92:95], a[106:107], a[2:3], v[92:95]// 0000000036B0: D3F3005C 1D72056A
	buffer_load_dwordx4 a[96:99], v64, s[24:27], 0 offen       // 0000000036B8: E05C1000 80866040
	v_mfma_f32_16x16x32_fp8_fp8 v[92:95], a[108:109], a[4:5], v[92:95]// 0000000036C0: D3F3005C 1D72096C
	v_mfma_f32_16x16x32_fp8_fp8 v[92:95], a[110:111], a[6:7], v[92:95]// 0000000036C8: D3F3005C 1D720D6E
	ds_read_b128 a[48:51], v2 offset:12416                     // 0000000036D0: DBFE3080 30000002
	ds_read_b128 a[52:55], v2 offset:12480                     // 0000000036D8: DBFE30C0 34000002
	v_mfma_f32_16x16x32_fp8_fp8 v[96:99], a[104:105], a[8:9], v[96:99]// 0000000036E0: D3F30060 1D821168
	v_mfma_f32_16x16x32_fp8_fp8 v[96:99], a[106:107], a[10:11], v[96:99]// 0000000036E8: D3F30060 1D82156A
	buffer_load_dwordx4 a[100:103], v64, s[24:27], 0 offen offset:1024// 0000000036F0: E05C1400 80866440
	v_mfma_f32_16x16x32_fp8_fp8 v[96:99], a[108:109], a[12:13], v[96:99]// 0000000036F8: D3F30060 1D82196C
	v_mfma_f32_16x16x32_fp8_fp8 v[96:99], a[110:111], a[14:15], v[96:99]// 000000003700: D3F30060 1D821D6E
	ds_read_b128 a[56:59], v2 offset:12928                     // 000000003708: DBFE3280 38000002
	ds_read_b128 a[60:63], v2 offset:12992                     // 000000003710: DBFE32C0 3C000002
	v_mfma_f32_16x16x32_fp8_fp8 v[100:103], a[104:105], a[16:17], v[100:103]// 000000003718: D3F30064 1D922168
	v_mfma_f32_16x16x32_fp8_fp8 v[100:103], a[106:107], a[18:19], v[100:103]// 000000003720: D3F30064 1D92256A
	v_mfma_f32_16x16x32_fp8_fp8 v[100:103], a[108:109], a[20:21], v[100:103]// 000000003728: D3F30064 1D92296C
	v_mfma_f32_16x16x32_fp8_fp8 v[100:103], a[110:111], a[22:23], v[100:103]// 000000003730: D3F30064 1D922D6E
	ds_read_b128 a[64:67], v2 offset:13440                     // 000000003738: DBFE3480 40000002
	ds_read_b128 a[68:71], v2 offset:13504                     // 000000003740: DBFE34C0 44000002
	v_mfma_f32_16x16x32_fp8_fp8 v[104:107], a[104:105], a[24:25], v[104:107]// 000000003748: D3F30068 1DA23168
	v_mfma_f32_16x16x32_fp8_fp8 v[104:107], a[106:107], a[26:27], v[104:107]// 000000003750: D3F30068 1DA2356A
	v_mfma_f32_16x16x32_fp8_fp8 v[104:107], a[108:109], a[28:29], v[104:107]// 000000003758: D3F30068 1DA2396C
	v_mfma_f32_16x16x32_fp8_fp8 v[104:107], a[110:111], a[30:31], v[104:107]// 000000003760: D3F30068 1DA23D6E
	ds_read_b128 a[72:75], v2 offset:13952                     // 000000003768: DBFE3680 48000002
	ds_read_b128 a[76:79], v2 offset:14016                     // 000000003770: DBFE36C0 4C000002
	v_mfma_f32_16x16x32_fp8_fp8 v[108:111], a[104:105], a[32:33], v[108:111]// 000000003778: D3F3006C 1DB24168
	v_mfma_f32_16x16x32_fp8_fp8 v[108:111], a[106:107], a[34:35], v[108:111]// 000000003780: D3F3006C 1DB2456A
	v_mfma_f32_16x16x32_fp8_fp8 v[108:111], a[108:109], a[36:37], v[108:111]// 000000003788: D3F3006C 1DB2496C
	s_add_u32 s60, 0x180, s80                                  // 000000003790: 803C50FF 00000180
	s_cmp_lt_u32 s60, s81                                      // 000000003798: BF0A513C
	s_cselect_b32 s57, s57, 0                                  // 00000000379C: 85398039
	v_mfma_f32_16x16x32_fp8_fp8 v[108:111], a[110:111], a[38:39], v[108:111]// 0000000037A0: D3F3006C 1DB24D6E
	ds_read_b128 a[80:83], v2 offset:14464                     // 0000000037A8: DBFE3880 50000002
	ds_read_b128 a[84:87], v2 offset:14528                     // 0000000037B0: DBFE38C0 54000002
	s_add_u32 s60, 0x100, s80                                  // 0000000037B8: 803C50FF 00000100
	s_cmp_lt_u32 s60, s81                                      // 0000000037C0: BF0A513C
	s_cselect_b32 s58, s58, 0                                  // 0000000037C4: 853A803A
	v_mfma_f32_16x16x32_fp8_fp8 v[112:115], a[104:105], a[40:41], v[112:115]// 0000000037C8: D3F30070 1DC25168
	s_add_u32 s24, s58, s24                                    // 0000000037D0: 8018183A
	s_addc_u32 s25, 0, s25                                     // 0000000037D4: 82191980
	v_mfma_f32_16x16x32_fp8_fp8 v[112:115], a[106:107], a[42:43], v[112:115]// 0000000037D8: D3F30070 1DC2556A
	s_add_u32 s20, s57, s20                                    // 0000000037E0: 80141439
	s_addc_u32 s21, 0, s21                                     // 0000000037E4: 82151580
	v_mfma_f32_16x16x32_fp8_fp8 v[112:115], a[108:109], a[44:45], v[112:115]// 0000000037E8: D3F30070 1DC2596C
	s_add_u32 s84, s83, s84                                    // 0000000037F0: 80545453
	s_addc_u32 s85, 0, s85                                     // 0000000037F4: 82555580
	v_mfma_f32_16x16x32_fp8_fp8 v[112:115], a[110:111], a[46:47], v[112:115]// 0000000037F8: D3F30070 1DC25D6E
	ds_read_b128 a[88:91], v2 offset:14976                     // 000000003800: DBFE3A80 58000002
	ds_read_b128 a[92:95], v2 offset:15040                     // 000000003808: DBFE3AC0 5C000002
	s_addk_i32 s80, 0x80                                       // 000000003810: B7500080
	s_cmp_lt_i32 s80, s81                                      // 000000003814: BF045150
	s_cbranch_scc0 label_044F                                  // 000000003818: BF8400C8
	s_waitcnt vmcnt(0) lgkmcnt(0)                              // 00000000381C: BF8C0070
	s_barrier                                                  // 000000003820: BF8A0000
	v_mfma_f32_16x16x32_fp8_fp8 v[68:71], a[96:97], a[48:49], v[68:71]// 000000003824: D3F30044 1D126160
	v_mfma_f32_16x16x32_fp8_fp8 v[68:71], a[98:99], a[50:51], v[68:71]// 00000000382C: D3F30044 1D126562
	buffer_load_dwordx4 a[104:107], v64, s[84:87], 0 offen     // 000000003834: E05C1000 80956840
	v_mfma_f32_16x16x32_fp8_fp8 v[68:71], a[100:101], a[52:53], v[68:71]// 00000000383C: D3F30044 1D126964
	v_mfma_f32_16x16x32_fp8_fp8 v[68:71], a[102:103], a[54:55], v[68:71]// 000000003844: D3F30044 1D126D66
	v_mfma_f32_16x16x32_fp8_fp8 v[72:75], a[96:97], a[56:57], v[72:75]// 00000000384C: D3F30048 1D227160
	v_mfma_f32_16x16x32_fp8_fp8 v[72:75], a[98:99], a[58:59], v[72:75]// 000000003854: D3F30048 1D227562
	buffer_load_dwordx4 a[108:111], v64, s[84:87], 0 offen offset:1024// 00000000385C: E05C1400 80956C40
	buffer_load_dword v52, s[20:23], 0 offen lds               // 000000003864: E0511000 80050034
	s_add_u32 m0, 0x100, s49                                   // 00000000386C: 807C31FF 00000100
	v_mfma_f32_16x16x32_fp8_fp8 v[72:75], a[100:101], a[60:61], v[72:75]// 000000003874: D3F30048 1D227964
	v_mfma_f32_16x16x32_fp8_fp8 v[72:75], a[102:103], a[62:63], v[72:75]// 00000000387C: D3F30048 1D227D66
	buffer_load_dword v53, s[20:23], 0 offen lds               // 000000003884: E0511000 80050035
	s_add_u32 m0, 0x200, s49                                   // 00000000388C: 807C31FF 00000200
	v_mfma_f32_16x16x32_fp8_fp8 v[76:79], a[96:97], a[64:65], v[76:79]// 000000003894: D3F3004C 1D328160
	v_mfma_f32_16x16x32_fp8_fp8 v[76:79], a[98:99], a[66:67], v[76:79]// 00000000389C: D3F3004C 1D328562
	buffer_load_dword v54, s[20:23], 0 offen lds               // 0000000038A4: E0511000 80050036
	s_add_u32 m0, 0x300, s49                                   // 0000000038AC: 807C31FF 00000300
	v_mfma_f32_16x16x32_fp8_fp8 v[76:79], a[100:101], a[68:69], v[76:79]// 0000000038B4: D3F3004C 1D328964
	v_mfma_f32_16x16x32_fp8_fp8 v[76:79], a[102:103], a[70:71], v[76:79]// 0000000038BC: D3F3004C 1D328D66
	buffer_load_dword v55, s[20:23], 0 offen lds               // 0000000038C4: E0511000 80050037
	s_add_u32 m0, 0x400, s49                                   // 0000000038CC: 807C31FF 00000400
	v_mfma_f32_16x16x32_fp8_fp8 v[80:83], a[96:97], a[72:73], v[80:83]// 0000000038D4: D3F30050 1D429160
	v_mfma_f32_16x16x32_fp8_fp8 v[80:83], a[98:99], a[74:75], v[80:83]// 0000000038DC: D3F30050 1D429562
	buffer_load_dword v56, s[20:23], 0 offen lds               // 0000000038E4: E0511000 80050038
	s_add_u32 m0, 0x500, s49                                   // 0000000038EC: 807C31FF 00000500
	v_mfma_f32_16x16x32_fp8_fp8 v[80:83], a[100:101], a[76:77], v[80:83]// 0000000038F4: D3F30050 1D429964
	v_mfma_f32_16x16x32_fp8_fp8 v[80:83], a[102:103], a[78:79], v[80:83]// 0000000038FC: D3F30050 1D429D66
	buffer_load_dword v57, s[20:23], 0 offen lds               // 000000003904: E0511000 80050039
	s_add_u32 m0, 0x600, s49                                   // 00000000390C: 807C31FF 00000600
	v_mfma_f32_16x16x32_fp8_fp8 v[84:87], a[96:97], a[80:81], v[84:87]// 000000003914: D3F30054 1D52A160
	v_mfma_f32_16x16x32_fp8_fp8 v[84:87], a[98:99], a[82:83], v[84:87]// 00000000391C: D3F30054 1D52A562
	buffer_load_dword v58, s[20:23], 0 offen lds               // 000000003924: E0511000 8005003A
	s_add_u32 m0, 0x700, s49                                   // 00000000392C: 807C31FF 00000700
	v_mfma_f32_16x16x32_fp8_fp8 v[84:87], a[100:101], a[84:85], v[84:87]// 000000003934: D3F30054 1D52A964
	v_mfma_f32_16x16x32_fp8_fp8 v[84:87], a[102:103], a[86:87], v[84:87]// 00000000393C: D3F30054 1D52AD66
	buffer_load_dword v59, s[20:23], 0 offen lds               // 000000003944: E0511000 8005003B
	s_add_u32 m0, 0x800, s49                                   // 00000000394C: 807C31FF 00000800
	v_mfma_f32_16x16x32_fp8_fp8 v[88:91], a[96:97], a[88:89], v[88:91]// 000000003954: D3F30058 1D62B160
	v_mfma_f32_16x16x32_fp8_fp8 v[88:91], a[98:99], a[90:91], v[88:91]// 00000000395C: D3F30058 1D62B562
	buffer_load_dword v60, s[20:23], 0 offen lds               // 000000003964: E0511000 8005003C
	s_add_u32 m0, 0x900, s49                                   // 00000000396C: 807C31FF 00000900
	s_add_u32 s60, 0x80, s80                                   // 000000003974: 803C50FF 00000080
	s_cmp_lt_u32 s60, s81                                      // 00000000397C: BF0A513C
	s_cselect_b32 s83, s83, 0                                  // 000000003980: 85538053
	v_mfma_f32_16x16x32_fp8_fp8 v[88:91], a[100:101], a[92:93], v[88:91]// 000000003984: D3F30058 1D62B964
	v_mfma_f32_16x16x32_fp8_fp8 v[88:91], a[102:103], a[94:95], v[88:91]// 00000000398C: D3F30058 1D62BD66
	buffer_load_dword v61, s[20:23], 0 offen lds               // 000000003994: E0511000 8005003D
	s_add_u32 m0, 0xa00, s49                                   // 00000000399C: 807C31FF 00000A00
	buffer_load_dword v62, s[20:23], 0 offen lds               // 0000000039A4: E0511000 8005003E
	s_add_u32 m0, 0xb00, s49                                   // 0000000039AC: 807C31FF 00000B00
	buffer_load_dword v63, s[20:23], 0 offen lds               // 0000000039B4: E0511000 8005003F
	s_add_u32 m0, 0, s48                                       // 0000000039BC: 807C3080
	s_waitcnt vmcnt(12)                                        // 0000000039C0: BF8C0F7C
	v_mfma_f32_16x16x32_fp8_fp8 v[92:95], a[104:105], a[48:49], v[92:95]// 0000000039C4: D3F3005C 1D726168
	v_mfma_f32_16x16x32_fp8_fp8 v[92:95], a[106:107], a[50:51], v[92:95]// 0000000039CC: D3F3005C 1D72656A
	buffer_load_dwordx4 a[96:99], v64, s[24:27], 0 offen       // 0000000039D4: E05C1000 80866040
	v_mfma_f32_16x16x32_fp8_fp8 v[92:95], a[108:109], a[52:53], v[92:95]// 0000000039DC: D3F3005C 1D72696C
	v_mfma_f32_16x16x32_fp8_fp8 v[92:95], a[110:111], a[54:55], v[92:95]// 0000000039E4: D3F3005C 1D726D6E
	ds_read_b128 a[0:3], v2                                    // 0000000039EC: DBFE0000 00000002
	ds_read_b128 a[4:7], v2 offset:64                          // 0000000039F4: DBFE0040 04000002
	v_mfma_f32_16x16x32_fp8_fp8 v[96:99], a[104:105], a[56:57], v[96:99]// 0000000039FC: D3F30060 1D827168
	v_mfma_f32_16x16x32_fp8_fp8 v[96:99], a[106:107], a[58:59], v[96:99]// 000000003A04: D3F30060 1D82756A
	buffer_load_dwordx4 a[100:103], v64, s[24:27], 0 offen offset:1024// 000000003A0C: E05C1400 80866440
	v_mfma_f32_16x16x32_fp8_fp8 v[96:99], a[108:109], a[60:61], v[96:99]// 000000003A14: D3F30060 1D82796C
	v_mfma_f32_16x16x32_fp8_fp8 v[96:99], a[110:111], a[62:63], v[96:99]// 000000003A1C: D3F30060 1D827D6E
	ds_read_b128 a[8:11], v2 offset:512                        // 000000003A24: DBFE0200 08000002
	ds_read_b128 a[12:15], v2 offset:576                       // 000000003A2C: DBFE0240 0C000002
	v_mfma_f32_16x16x32_fp8_fp8 v[100:103], a[104:105], a[64:65], v[100:103]// 000000003A34: D3F30064 1D928168
	v_mfma_f32_16x16x32_fp8_fp8 v[100:103], a[106:107], a[66:67], v[100:103]// 000000003A3C: D3F30064 1D92856A
	v_mfma_f32_16x16x32_fp8_fp8 v[100:103], a[108:109], a[68:69], v[100:103]// 000000003A44: D3F30064 1D92896C
	v_mfma_f32_16x16x32_fp8_fp8 v[100:103], a[110:111], a[70:71], v[100:103]// 000000003A4C: D3F30064 1D928D6E
	ds_read_b128 a[16:19], v2 offset:1024                      // 000000003A54: DBFE0400 10000002
	ds_read_b128 a[20:23], v2 offset:1088                      // 000000003A5C: DBFE0440 14000002
	v_mfma_f32_16x16x32_fp8_fp8 v[104:107], a[104:105], a[72:73], v[104:107]// 000000003A64: D3F30068 1DA29168
	v_mfma_f32_16x16x32_fp8_fp8 v[104:107], a[106:107], a[74:75], v[104:107]// 000000003A6C: D3F30068 1DA2956A
	v_mfma_f32_16x16x32_fp8_fp8 v[104:107], a[108:109], a[76:77], v[104:107]// 000000003A74: D3F30068 1DA2996C
	v_mfma_f32_16x16x32_fp8_fp8 v[104:107], a[110:111], a[78:79], v[104:107]// 000000003A7C: D3F30068 1DA29D6E
	ds_read_b128 a[24:27], v2 offset:1536                      // 000000003A84: DBFE0600 18000002
	ds_read_b128 a[28:31], v2 offset:1600                      // 000000003A8C: DBFE0640 1C000002
	v_mfma_f32_16x16x32_fp8_fp8 v[108:111], a[104:105], a[80:81], v[108:111]// 000000003A94: D3F3006C 1DB2A168
	v_mfma_f32_16x16x32_fp8_fp8 v[108:111], a[106:107], a[82:83], v[108:111]// 000000003A9C: D3F3006C 1DB2A56A
	v_mfma_f32_16x16x32_fp8_fp8 v[108:111], a[108:109], a[84:85], v[108:111]// 000000003AA4: D3F3006C 1DB2A96C
	s_add_u32 s60, 0x180, s80                                  // 000000003AAC: 803C50FF 00000180
	s_cmp_lt_u32 s60, s81                                      // 000000003AB4: BF0A513C
	s_cselect_b32 s57, s57, 0                                  // 000000003AB8: 85398039
	v_mfma_f32_16x16x32_fp8_fp8 v[108:111], a[110:111], a[86:87], v[108:111]// 000000003ABC: D3F3006C 1DB2AD6E
	ds_read_b128 a[32:35], v2 offset:2048                      // 000000003AC4: DBFE0800 20000002
	ds_read_b128 a[36:39], v2 offset:2112                      // 000000003ACC: DBFE0840 24000002
	s_add_u32 s60, 0x100, s80                                  // 000000003AD4: 803C50FF 00000100
	s_cmp_lt_u32 s60, s81                                      // 000000003ADC: BF0A513C
	s_cselect_b32 s58, s58, 0                                  // 000000003AE0: 853A803A
	v_mfma_f32_16x16x32_fp8_fp8 v[112:115], a[104:105], a[88:89], v[112:115]// 000000003AE4: D3F30070 1DC2B168
	s_add_u32 s24, s58, s24                                    // 000000003AEC: 8018183A
	s_addc_u32 s25, 0, s25                                     // 000000003AF0: 82191980
	v_mfma_f32_16x16x32_fp8_fp8 v[112:115], a[106:107], a[90:91], v[112:115]// 000000003AF4: D3F30070 1DC2B56A
	s_add_u32 s20, s57, s20                                    // 000000003AFC: 80141439
	s_addc_u32 s21, 0, s21                                     // 000000003B00: 82151580
	v_mfma_f32_16x16x32_fp8_fp8 v[112:115], a[108:109], a[92:93], v[112:115]// 000000003B04: D3F30070 1DC2B96C
	s_add_u32 s84, s83, s84                                    // 000000003B0C: 80545453
	s_addc_u32 s85, 0, s85                                     // 000000003B10: 82555580
	v_mfma_f32_16x16x32_fp8_fp8 v[112:115], a[110:111], a[94:95], v[112:115]// 000000003B14: D3F30070 1DC2BD6E
	ds_read_b128 a[40:43], v2 offset:2560                      // 000000003B1C: DBFE0A00 28000002
	ds_read_b128 a[44:47], v2 offset:2624                      // 000000003B24: DBFE0A40 2C000002
	s_addk_i32 s80, 0x80                                       // 000000003B2C: B7500080
	s_cmp_lt_i32 s80, s81                                      // 000000003B30: BF045150
	s_cbranch_scc0 label_044F                                  // 000000003B34: BF840001
	s_branch label_02C0                                        // 000000003B38: BF82FE71

0000000000003b3c <label_044F>:
	v_mul_f32_dpp v68, v24, v68 row_newbcast:0 row_mask:0xf bank_mask:0xf// 000000003B3C: 0A8888FA FF015018
	v_mul_f32_dpp v69, v24, v69 row_newbcast:1 row_mask:0xf bank_mask:0xf// 000000003B44: 0A8A8AFA FF015118
	v_mul_f32_dpp v70, v24, v70 row_newbcast:2 row_mask:0xf bank_mask:0xf// 000000003B4C: 0A8C8CFA FF015218
	v_mul_f32_dpp v71, v24, v71 row_newbcast:3 row_mask:0xf bank_mask:0xf// 000000003B54: 0A8E8EFA FF015318
	v_mul_f32_dpp v72, v24, v72 row_newbcast:0 row_mask:0xf bank_mask:0xf// 000000003B5C: 0A9090FA FF015018
	v_mul_f32_dpp v73, v24, v73 row_newbcast:1 row_mask:0xf bank_mask:0xf// 000000003B64: 0A9292FA FF015118
	v_mul_f32_dpp v74, v24, v74 row_newbcast:2 row_mask:0xf bank_mask:0xf// 000000003B6C: 0A9494FA FF015218
	v_mul_f32_dpp v75, v24, v75 row_newbcast:3 row_mask:0xf bank_mask:0xf// 000000003B74: 0A9696FA FF015318
	v_mul_f32_dpp v76, v24, v76 row_newbcast:0 row_mask:0xf bank_mask:0xf// 000000003B7C: 0A9898FA FF015018
	v_mul_f32_dpp v77, v24, v77 row_newbcast:1 row_mask:0xf bank_mask:0xf// 000000003B84: 0A9A9AFA FF015118
	v_mul_f32_dpp v78, v24, v78 row_newbcast:2 row_mask:0xf bank_mask:0xf// 000000003B8C: 0A9C9CFA FF015218
	v_mul_f32_dpp v79, v24, v79 row_newbcast:3 row_mask:0xf bank_mask:0xf// 000000003B94: 0A9E9EFA FF015318
	v_mul_f32_dpp v80, v24, v80 row_newbcast:0 row_mask:0xf bank_mask:0xf// 000000003B9C: 0AA0A0FA FF015018
	v_mul_f32_dpp v81, v24, v81 row_newbcast:1 row_mask:0xf bank_mask:0xf// 000000003BA4: 0AA2A2FA FF015118
	v_mul_f32_dpp v82, v24, v82 row_newbcast:2 row_mask:0xf bank_mask:0xf// 000000003BAC: 0AA4A4FA FF015218
	v_mul_f32_dpp v83, v24, v83 row_newbcast:3 row_mask:0xf bank_mask:0xf// 000000003BB4: 0AA6A6FA FF015318
	v_mul_f32_dpp v84, v24, v84 row_newbcast:0 row_mask:0xf bank_mask:0xf// 000000003BBC: 0AA8A8FA FF015018
	v_mul_f32_dpp v85, v24, v85 row_newbcast:1 row_mask:0xf bank_mask:0xf// 000000003BC4: 0AAAAAFA FF015118
	v_mul_f32_dpp v86, v24, v86 row_newbcast:2 row_mask:0xf bank_mask:0xf// 000000003BCC: 0AACACFA FF015218
	v_mul_f32_dpp v87, v24, v87 row_newbcast:3 row_mask:0xf bank_mask:0xf// 000000003BD4: 0AAEAEFA FF015318
	v_mul_f32_dpp v88, v24, v88 row_newbcast:0 row_mask:0xf bank_mask:0xf// 000000003BDC: 0AB0B0FA FF015018
	v_mul_f32_dpp v89, v24, v89 row_newbcast:1 row_mask:0xf bank_mask:0xf// 000000003BE4: 0AB2B2FA FF015118
	v_mul_f32_dpp v90, v24, v90 row_newbcast:2 row_mask:0xf bank_mask:0xf// 000000003BEC: 0AB4B4FA FF015218
	v_mul_f32_dpp v91, v24, v91 row_newbcast:3 row_mask:0xf bank_mask:0xf// 000000003BF4: 0AB6B6FA FF015318
	v_mul_f32_dpp v92, v26, v92 row_newbcast:0 row_mask:0xf bank_mask:0xf// 000000003BFC: 0AB8B8FA FF01501A
	v_mul_f32_dpp v93, v26, v93 row_newbcast:1 row_mask:0xf bank_mask:0xf// 000000003C04: 0ABABAFA FF01511A
	v_mul_f32_dpp v94, v26, v94 row_newbcast:2 row_mask:0xf bank_mask:0xf// 000000003C0C: 0ABCBCFA FF01521A
	v_mul_f32_dpp v95, v26, v95 row_newbcast:3 row_mask:0xf bank_mask:0xf// 000000003C14: 0ABEBEFA FF01531A
	v_mul_f32_dpp v96, v26, v96 row_newbcast:0 row_mask:0xf bank_mask:0xf// 000000003C1C: 0AC0C0FA FF01501A
	v_mul_f32_dpp v97, v26, v97 row_newbcast:1 row_mask:0xf bank_mask:0xf// 000000003C24: 0AC2C2FA FF01511A
	v_mul_f32_dpp v98, v26, v98 row_newbcast:2 row_mask:0xf bank_mask:0xf// 000000003C2C: 0AC4C4FA FF01521A
	v_mul_f32_dpp v99, v26, v99 row_newbcast:3 row_mask:0xf bank_mask:0xf// 000000003C34: 0AC6C6FA FF01531A
	v_mul_f32_dpp v100, v26, v100 row_newbcast:0 row_mask:0xf bank_mask:0xf// 000000003C3C: 0AC8C8FA FF01501A
	v_mul_f32_dpp v101, v26, v101 row_newbcast:1 row_mask:0xf bank_mask:0xf// 000000003C44: 0ACACAFA FF01511A
	v_mul_f32_dpp v102, v26, v102 row_newbcast:2 row_mask:0xf bank_mask:0xf// 000000003C4C: 0ACCCCFA FF01521A
	v_mul_f32_dpp v103, v26, v103 row_newbcast:3 row_mask:0xf bank_mask:0xf// 000000003C54: 0ACECEFA FF01531A
	v_mul_f32_dpp v104, v26, v104 row_newbcast:0 row_mask:0xf bank_mask:0xf// 000000003C5C: 0AD0D0FA FF01501A
	v_mul_f32_dpp v105, v26, v105 row_newbcast:1 row_mask:0xf bank_mask:0xf// 000000003C64: 0AD2D2FA FF01511A
	v_mul_f32_dpp v106, v26, v106 row_newbcast:2 row_mask:0xf bank_mask:0xf// 000000003C6C: 0AD4D4FA FF01521A
	v_mul_f32_dpp v107, v26, v107 row_newbcast:3 row_mask:0xf bank_mask:0xf// 000000003C74: 0AD6D6FA FF01531A
	v_mul_f32_dpp v108, v26, v108 row_newbcast:0 row_mask:0xf bank_mask:0xf// 000000003C7C: 0AD8D8FA FF01501A
	v_mul_f32_dpp v109, v26, v109 row_newbcast:1 row_mask:0xf bank_mask:0xf// 000000003C84: 0ADADAFA FF01511A
	v_mul_f32_dpp v110, v26, v110 row_newbcast:2 row_mask:0xf bank_mask:0xf// 000000003C8C: 0ADCDCFA FF01521A
	v_mul_f32_dpp v111, v26, v111 row_newbcast:3 row_mask:0xf bank_mask:0xf// 000000003C94: 0ADEDEFA FF01531A
	v_mul_f32_dpp v112, v26, v112 row_newbcast:0 row_mask:0xf bank_mask:0xf// 000000003C9C: 0AE0E0FA FF01501A
	v_mul_f32_dpp v113, v26, v113 row_newbcast:1 row_mask:0xf bank_mask:0xf// 000000003CA4: 0AE2E2FA FF01511A
	v_mul_f32_dpp v114, v26, v114 row_newbcast:2 row_mask:0xf bank_mask:0xf// 000000003CAC: 0AE4E4FA FF01521A
	v_mul_f32_dpp v115, v26, v115 row_newbcast:3 row_mask:0xf bank_mask:0xf// 000000003CB4: 0AE6E6FA FF01531A
	v_mov_b32_e32 v4, v34                                      // 000000003CBC: 7E080322
	v_mov_b32_e32 v5, v4                                       // 000000003CC0: 7E0A0304
	v_pk_mul_f32 v[68:69], v[4:5], v[68:69]                    // 000000003CC4: D3B14044 18028904
	v_pk_mul_f32 v[92:93], v[4:5], v[92:93]                    // 000000003CCC: D3B1405C 1802B904
	v_pk_mul_f32 v[70:71], v[4:5], v[70:71]                    // 000000003CD4: D3B14046 18028D04
	v_pk_mul_f32 v[94:95], v[4:5], v[94:95]                    // 000000003CDC: D3B1405E 1802BD04
	v_mov_b32_e32 v4, v35                                      // 000000003CE4: 7E080323
	v_mov_b32_e32 v5, v4                                       // 000000003CE8: 7E0A0304
	v_pk_mul_f32 v[72:73], v[4:5], v[72:73]                    // 000000003CEC: D3B14048 18029104
	v_pk_mul_f32 v[96:97], v[4:5], v[96:97]                    // 000000003CF4: D3B14060 1802C104
	v_pk_mul_f32 v[74:75], v[4:5], v[74:75]                    // 000000003CFC: D3B1404A 18029504
	v_pk_mul_f32 v[98:99], v[4:5], v[98:99]                    // 000000003D04: D3B14062 1802C504
	v_mov_b32_e32 v4, v36                                      // 000000003D0C: 7E080324
	v_mov_b32_e32 v5, v4                                       // 000000003D10: 7E0A0304
	v_pk_mul_f32 v[76:77], v[4:5], v[76:77]                    // 000000003D14: D3B1404C 18029904
	v_pk_mul_f32 v[100:101], v[4:5], v[100:101]                // 000000003D1C: D3B14064 1802C904
	v_pk_mul_f32 v[78:79], v[4:5], v[78:79]                    // 000000003D24: D3B1404E 18029D04
	v_pk_mul_f32 v[102:103], v[4:5], v[102:103]                // 000000003D2C: D3B14066 1802CD04
	v_mov_b32_e32 v4, v37                                      // 000000003D34: 7E080325
	v_mov_b32_e32 v5, v4                                       // 000000003D38: 7E0A0304
	v_pk_mul_f32 v[80:81], v[4:5], v[80:81]                    // 000000003D3C: D3B14050 1802A104
	v_pk_mul_f32 v[104:105], v[4:5], v[104:105]                // 000000003D44: D3B14068 1802D104
	v_pk_mul_f32 v[82:83], v[4:5], v[82:83]                    // 000000003D4C: D3B14052 1802A504
	v_pk_mul_f32 v[106:107], v[4:5], v[106:107]                // 000000003D54: D3B1406A 1802D504
	v_mov_b32_e32 v4, v38                                      // 000000003D5C: 7E080326
	v_mov_b32_e32 v5, v4                                       // 000000003D60: 7E0A0304
	v_pk_mul_f32 v[84:85], v[4:5], v[84:85]                    // 000000003D64: D3B14054 1802A904
	v_pk_mul_f32 v[108:109], v[4:5], v[108:109]                // 000000003D6C: D3B1406C 1802D904
	v_pk_mul_f32 v[86:87], v[4:5], v[86:87]                    // 000000003D74: D3B14056 1802AD04
	v_pk_mul_f32 v[110:111], v[4:5], v[110:111]                // 000000003D7C: D3B1406E 1802DD04
	v_mov_b32_e32 v4, v39                                      // 000000003D84: 7E080327
	v_mov_b32_e32 v5, v4                                       // 000000003D88: 7E0A0304
	v_pk_mul_f32 v[88:89], v[4:5], v[88:89]                    // 000000003D8C: D3B14058 1802B104
	v_pk_mul_f32 v[112:113], v[4:5], v[112:113]                // 000000003D94: D3B14070 1802E104
	v_pk_mul_f32 v[90:91], v[4:5], v[90:91]                    // 000000003D9C: D3B1405A 1802B504
	v_pk_mul_f32 v[114:115], v[4:5], v[114:115]                // 000000003DA4: D3B14072 1802E504
	s_cmp_eq_u32 s88, 0                                        // 000000003DAC: BF068058
	s_cbranch_scc0 label_096A                                  // 000000003DB0: BF84047D
	s_cmp_eq_u32 s89, 0                                        // 000000003DB4: BF068059
	s_cbranch_scc1 label_05E4                                  // 000000003DB8: BF8500F5
	v_mov_b32_e32 v8, v1                                       // 000000003DBC: 7E100301
	v_mov_b32_e32 v9, v1                                       // 000000003DC0: 7E120301
	s_mov_b32 s60, s6                                          // 000000003DC4: BEBC0006
	s_mov_b32 s61, s6                                          // 000000003DC8: BEBD0006
	v_pk_mul_f32 v[4:5], v[68:69], v[68:69]                    // 000000003DCC: D3B14004 18028944
	v_pk_mul_f32 v[6:7], v[70:71], v[70:71]                    // 000000003DD4: D3B14006 18028D46
	v_pk_fma_f32 v[4:5], v[4:5], s[78:79], v[8:9]              // 000000003DDC: D3B04004 1C209D04
	v_pk_fma_f32 v[6:7], v[6:7], s[78:79], v[8:9]              // 000000003DE4: D3B04006 1C209D06
	v_pk_mul_f32 v[4:5], v[4:5], v[68:69]                      // 000000003DEC: D3B14004 18028904
	v_pk_mul_f32 v[6:7], v[6:7], v[70:71]                      // 000000003DF4: D3B14006 18028D06
	v_pk_mul_f32 v[4:5], v[4:5], s[60:61]                      // 000000003DFC: D3B14004 18007904
	v_pk_mul_f32 v[6:7], v[6:7], s[60:61]                      // 000000003E04: D3B14006 18007906
	v_exp_f32_e32 v4, v4                                       // 000000003E0C: 7E084104
	v_exp_f32_e32 v5, v5                                       // 000000003E10: 7E0A4105
	v_exp_f32_e32 v6, v6                                       // 000000003E14: 7E0C4106
	v_exp_f32_e32 v7, v7                                       // 000000003E18: 7E0E4107
	v_add_f32_e64 v4, v4, 1.0                                  // 000000003E1C: D1010004 0001E504
	v_add_f32_e64 v5, v5, 1.0                                  // 000000003E24: D1010005 0001E505
	v_add_f32_e64 v6, v6, 1.0                                  // 000000003E2C: D1010006 0001E506
	v_add_f32_e64 v7, v7, 1.0                                  // 000000003E34: D1010007 0001E507
	v_rcp_f32_e32 v4, v4                                       // 000000003E3C: 7E084504
	v_rcp_f32_e32 v5, v5                                       // 000000003E40: 7E0A4505
	v_rcp_f32_e32 v6, v6                                       // 000000003E44: 7E0C4506
	v_rcp_f32_e32 v7, v7                                       // 000000003E48: 7E0E4507
	v_mul_f32_e32 v68, v68, v4                                 // 000000003E4C: 0A880944
	v_mul_f32_e32 v69, v69, v5                                 // 000000003E50: 0A8A0B45
	v_mul_f32_e32 v70, v70, v6                                 // 000000003E54: 0A8C0D46
	v_mul_f32_e32 v71, v71, v7                                 // 000000003E58: 0A8E0F47
	v_mul_f32_e32 v68, v68, v92                                // 000000003E5C: 0A88B944
	v_mul_f32_e32 v69, v69, v93                                // 000000003E60: 0A8ABB45
	v_mul_f32_e32 v70, v70, v94                                // 000000003E64: 0A8CBD46
	v_mul_f32_e32 v71, v71, v95                                // 000000003E68: 0A8EBF47
	v_pk_mul_f32 v[4:5], v[72:73], v[72:73]                    // 000000003E6C: D3B14004 18029148
	v_pk_mul_f32 v[6:7], v[74:75], v[74:75]                    // 000000003E74: D3B14006 1802954A
	v_pk_fma_f32 v[4:5], v[4:5], s[78:79], v[8:9]              // 000000003E7C: D3B04004 1C209D04
	v_pk_fma_f32 v[6:7], v[6:7], s[78:79], v[8:9]              // 000000003E84: D3B04006 1C209D06
	v_pk_mul_f32 v[4:5], v[4:5], v[72:73]                      // 000000003E8C: D3B14004 18029104
	v_pk_mul_f32 v[6:7], v[6:7], v[74:75]                      // 000000003E94: D3B14006 18029506
	v_pk_mul_f32 v[4:5], v[4:5], s[60:61]                      // 000000003E9C: D3B14004 18007904
	v_pk_mul_f32 v[6:7], v[6:7], s[60:61]                      // 000000003EA4: D3B14006 18007906
	v_exp_f32_e32 v4, v4                                       // 000000003EAC: 7E084104
	v_exp_f32_e32 v5, v5                                       // 000000003EB0: 7E0A4105
	v_exp_f32_e32 v6, v6                                       // 000000003EB4: 7E0C4106
	v_exp_f32_e32 v7, v7                                       // 000000003EB8: 7E0E4107
	v_add_f32_e64 v4, v4, 1.0                                  // 000000003EBC: D1010004 0001E504
	v_add_f32_e64 v5, v5, 1.0                                  // 000000003EC4: D1010005 0001E505
	v_add_f32_e64 v6, v6, 1.0                                  // 000000003ECC: D1010006 0001E506
	v_add_f32_e64 v7, v7, 1.0                                  // 000000003ED4: D1010007 0001E507
	v_rcp_f32_e32 v4, v4                                       // 000000003EDC: 7E084504
	v_rcp_f32_e32 v5, v5                                       // 000000003EE0: 7E0A4505
	v_rcp_f32_e32 v6, v6                                       // 000000003EE4: 7E0C4506
	v_rcp_f32_e32 v7, v7                                       // 000000003EE8: 7E0E4507
	v_mul_f32_e32 v72, v72, v4                                 // 000000003EEC: 0A900948
	v_mul_f32_e32 v73, v73, v5                                 // 000000003EF0: 0A920B49
	v_mul_f32_e32 v74, v74, v6                                 // 000000003EF4: 0A940D4A
	v_mul_f32_e32 v75, v75, v7                                 // 000000003EF8: 0A960F4B
	v_mul_f32_e32 v72, v72, v96                                // 000000003EFC: 0A90C148
	v_mul_f32_e32 v73, v73, v97                                // 000000003F00: 0A92C349
	v_mul_f32_e32 v74, v74, v98                                // 000000003F04: 0A94C54A
	v_mul_f32_e32 v75, v75, v99                                // 000000003F08: 0A96C74B
	v_pk_mul_f32 v[4:5], v[76:77], v[76:77]                    // 000000003F0C: D3B14004 1802994C
	v_pk_mul_f32 v[6:7], v[78:79], v[78:79]                    // 000000003F14: D3B14006 18029D4E
	v_pk_fma_f32 v[4:5], v[4:5], s[78:79], v[8:9]              // 000000003F1C: D3B04004 1C209D04
	v_pk_fma_f32 v[6:7], v[6:7], s[78:79], v[8:9]              // 000000003F24: D3B04006 1C209D06
	v_pk_mul_f32 v[4:5], v[4:5], v[76:77]                      // 000000003F2C: D3B14004 18029904
	v_pk_mul_f32 v[6:7], v[6:7], v[78:79]                      // 000000003F34: D3B14006 18029D06
	v_pk_mul_f32 v[4:5], v[4:5], s[60:61]                      // 000000003F3C: D3B14004 18007904
	v_pk_mul_f32 v[6:7], v[6:7], s[60:61]                      // 000000003F44: D3B14006 18007906
	v_exp_f32_e32 v4, v4                                       // 000000003F4C: 7E084104
	v_exp_f32_e32 v5, v5                                       // 000000003F50: 7E0A4105
	v_exp_f32_e32 v6, v6                                       // 000000003F54: 7E0C4106
	v_exp_f32_e32 v7, v7                                       // 000000003F58: 7E0E4107
	v_add_f32_e64 v4, v4, 1.0                                  // 000000003F5C: D1010004 0001E504
	v_add_f32_e64 v5, v5, 1.0                                  // 000000003F64: D1010005 0001E505
	v_add_f32_e64 v6, v6, 1.0                                  // 000000003F6C: D1010006 0001E506
	v_add_f32_e64 v7, v7, 1.0                                  // 000000003F74: D1010007 0001E507
	v_rcp_f32_e32 v4, v4                                       // 000000003F7C: 7E084504
	v_rcp_f32_e32 v5, v5                                       // 000000003F80: 7E0A4505
	v_rcp_f32_e32 v6, v6                                       // 000000003F84: 7E0C4506
	v_rcp_f32_e32 v7, v7                                       // 000000003F88: 7E0E4507
	v_mul_f32_e32 v76, v76, v4                                 // 000000003F8C: 0A98094C
	v_mul_f32_e32 v77, v77, v5                                 // 000000003F90: 0A9A0B4D
	v_mul_f32_e32 v78, v78, v6                                 // 000000003F94: 0A9C0D4E
	v_mul_f32_e32 v79, v79, v7                                 // 000000003F98: 0A9E0F4F
	v_mul_f32_e32 v76, v76, v100                               // 000000003F9C: 0A98C94C
	v_mul_f32_e32 v77, v77, v101                               // 000000003FA0: 0A9ACB4D
	v_mul_f32_e32 v78, v78, v102                               // 000000003FA4: 0A9CCD4E
	v_mul_f32_e32 v79, v79, v103                               // 000000003FA8: 0A9ECF4F
	v_pk_mul_f32 v[4:5], v[80:81], v[80:81]                    // 000000003FAC: D3B14004 1802A150
	v_pk_mul_f32 v[6:7], v[82:83], v[82:83]                    // 000000003FB4: D3B14006 1802A552
	v_pk_fma_f32 v[4:5], v[4:5], s[78:79], v[8:9]              // 000000003FBC: D3B04004 1C209D04
	v_pk_fma_f32 v[6:7], v[6:7], s[78:79], v[8:9]              // 000000003FC4: D3B04006 1C209D06
	v_pk_mul_f32 v[4:5], v[4:5], v[80:81]                      // 000000003FCC: D3B14004 1802A104
	v_pk_mul_f32 v[6:7], v[6:7], v[82:83]                      // 000000003FD4: D3B14006 1802A506
	v_pk_mul_f32 v[4:5], v[4:5], s[60:61]                      // 000000003FDC: D3B14004 18007904
	v_pk_mul_f32 v[6:7], v[6:7], s[60:61]                      // 000000003FE4: D3B14006 18007906
	v_exp_f32_e32 v4, v4                                       // 000000003FEC: 7E084104
	v_exp_f32_e32 v5, v5                                       // 000000003FF0: 7E0A4105
	v_exp_f32_e32 v6, v6                                       // 000000003FF4: 7E0C4106
	v_exp_f32_e32 v7, v7                                       // 000000003FF8: 7E0E4107
	v_add_f32_e64 v4, v4, 1.0                                  // 000000003FFC: D1010004 0001E504
	v_add_f32_e64 v5, v5, 1.0                                  // 000000004004: D1010005 0001E505
	v_add_f32_e64 v6, v6, 1.0                                  // 00000000400C: D1010006 0001E506
	v_add_f32_e64 v7, v7, 1.0                                  // 000000004014: D1010007 0001E507
	v_rcp_f32_e32 v4, v4                                       // 00000000401C: 7E084504
	v_rcp_f32_e32 v5, v5                                       // 000000004020: 7E0A4505
	v_rcp_f32_e32 v6, v6                                       // 000000004024: 7E0C4506
	v_rcp_f32_e32 v7, v7                                       // 000000004028: 7E0E4507
	v_mul_f32_e32 v80, v80, v4                                 // 00000000402C: 0AA00950
	v_mul_f32_e32 v81, v81, v5                                 // 000000004030: 0AA20B51
	v_mul_f32_e32 v82, v82, v6                                 // 000000004034: 0AA40D52
	v_mul_f32_e32 v83, v83, v7                                 // 000000004038: 0AA60F53
	v_mul_f32_e32 v80, v80, v104                               // 00000000403C: 0AA0D150
	v_mul_f32_e32 v81, v81, v105                               // 000000004040: 0AA2D351
	v_mul_f32_e32 v82, v82, v106                               // 000000004044: 0AA4D552
	v_mul_f32_e32 v83, v83, v107                               // 000000004048: 0AA6D753
	v_pk_mul_f32 v[4:5], v[84:85], v[84:85]                    // 00000000404C: D3B14004 1802A954
	v_pk_mul_f32 v[6:7], v[86:87], v[86:87]                    // 000000004054: D3B14006 1802AD56
	v_pk_fma_f32 v[4:5], v[4:5], s[78:79], v[8:9]              // 00000000405C: D3B04004 1C209D04
	v_pk_fma_f32 v[6:7], v[6:7], s[78:79], v[8:9]              // 000000004064: D3B04006 1C209D06
	v_pk_mul_f32 v[4:5], v[4:5], v[84:85]                      // 00000000406C: D3B14004 1802A904
	v_pk_mul_f32 v[6:7], v[6:7], v[86:87]                      // 000000004074: D3B14006 1802AD06
	v_pk_mul_f32 v[4:5], v[4:5], s[60:61]                      // 00000000407C: D3B14004 18007904
	v_pk_mul_f32 v[6:7], v[6:7], s[60:61]                      // 000000004084: D3B14006 18007906
	v_exp_f32_e32 v4, v4                                       // 00000000408C: 7E084104
	v_exp_f32_e32 v5, v5                                       // 000000004090: 7E0A4105
	v_exp_f32_e32 v6, v6                                       // 000000004094: 7E0C4106
	v_exp_f32_e32 v7, v7                                       // 000000004098: 7E0E4107
	v_add_f32_e64 v4, v4, 1.0                                  // 00000000409C: D1010004 0001E504
	v_add_f32_e64 v5, v5, 1.0                                  // 0000000040A4: D1010005 0001E505
	v_add_f32_e64 v6, v6, 1.0                                  // 0000000040AC: D1010006 0001E506
	v_add_f32_e64 v7, v7, 1.0                                  // 0000000040B4: D1010007 0001E507
	v_rcp_f32_e32 v4, v4                                       // 0000000040BC: 7E084504
	v_rcp_f32_e32 v5, v5                                       // 0000000040C0: 7E0A4505
	v_rcp_f32_e32 v6, v6                                       // 0000000040C4: 7E0C4506
	v_rcp_f32_e32 v7, v7                                       // 0000000040C8: 7E0E4507
	v_mul_f32_e32 v84, v84, v4                                 // 0000000040CC: 0AA80954
	v_mul_f32_e32 v85, v85, v5                                 // 0000000040D0: 0AAA0B55
	v_mul_f32_e32 v86, v86, v6                                 // 0000000040D4: 0AAC0D56
	v_mul_f32_e32 v87, v87, v7                                 // 0000000040D8: 0AAE0F57
	v_mul_f32_e32 v84, v84, v108                               // 0000000040DC: 0AA8D954
	v_mul_f32_e32 v85, v85, v109                               // 0000000040E0: 0AAADB55
	v_mul_f32_e32 v86, v86, v110                               // 0000000040E4: 0AACDD56
	v_mul_f32_e32 v87, v87, v111                               // 0000000040E8: 0AAEDF57
	v_pk_mul_f32 v[4:5], v[88:89], v[88:89]                    // 0000000040EC: D3B14004 1802B158
	v_pk_mul_f32 v[6:7], v[90:91], v[90:91]                    // 0000000040F4: D3B14006 1802B55A
	v_pk_fma_f32 v[4:5], v[4:5], s[78:79], v[8:9]              // 0000000040FC: D3B04004 1C209D04
	v_pk_fma_f32 v[6:7], v[6:7], s[78:79], v[8:9]              // 000000004104: D3B04006 1C209D06
	v_pk_mul_f32 v[4:5], v[4:5], v[88:89]                      // 00000000410C: D3B14004 1802B104
	v_pk_mul_f32 v[6:7], v[6:7], v[90:91]                      // 000000004114: D3B14006 1802B506
	v_pk_mul_f32 v[4:5], v[4:5], s[60:61]                      // 00000000411C: D3B14004 18007904
	v_pk_mul_f32 v[6:7], v[6:7], s[60:61]                      // 000000004124: D3B14006 18007906
	v_exp_f32_e32 v4, v4                                       // 00000000412C: 7E084104
	v_exp_f32_e32 v5, v5                                       // 000000004130: 7E0A4105
	v_exp_f32_e32 v6, v6                                       // 000000004134: 7E0C4106
	v_exp_f32_e32 v7, v7                                       // 000000004138: 7E0E4107
	v_add_f32_e64 v4, v4, 1.0                                  // 00000000413C: D1010004 0001E504
	v_add_f32_e64 v5, v5, 1.0                                  // 000000004144: D1010005 0001E505
	v_add_f32_e64 v6, v6, 1.0                                  // 00000000414C: D1010006 0001E506
	v_add_f32_e64 v7, v7, 1.0                                  // 000000004154: D1010007 0001E507
	v_rcp_f32_e32 v4, v4                                       // 00000000415C: 7E084504
	v_rcp_f32_e32 v5, v5                                       // 000000004160: 7E0A4505
	v_rcp_f32_e32 v6, v6                                       // 000000004164: 7E0C4506
	v_rcp_f32_e32 v7, v7                                       // 000000004168: 7E0E4507
	v_mul_f32_e32 v88, v88, v4                                 // 00000000416C: 0AB00958
	v_mul_f32_e32 v89, v89, v5                                 // 000000004170: 0AB20B59
	v_mul_f32_e32 v90, v90, v6                                 // 000000004174: 0AB40D5A
	v_mul_f32_e32 v91, v91, v7                                 // 000000004178: 0AB60F5B
	v_mul_f32_e32 v88, v88, v112                               // 00000000417C: 0AB0E158
	v_mul_f32_e32 v89, v89, v113                               // 000000004180: 0AB2E359
	v_mul_f32_e32 v90, v90, v114                               // 000000004184: 0AB4E55A
	v_mul_f32_e32 v91, v91, v115                               // 000000004188: 0AB6E75B
	s_branch label_06A4                                        // 00000000418C: BF8200C0

0000000000004190 <label_05E4>:
	v_mul_f32_e64 v4, -v68, s6                                 // 000000004190: D1050004 20000D44
	v_mul_f32_e64 v5, -v69, s6                                 // 000000004198: D1050005 20000D45
	v_mul_f32_e64 v6, -v70, s6                                 // 0000000041A0: D1050006 20000D46
	v_mul_f32_e64 v7, -v71, s6                                 // 0000000041A8: D1050007 20000D47
	v_exp_f32_e32 v4, v4                                       // 0000000041B0: 7E084104
	v_exp_f32_e32 v5, v5                                       // 0000000041B4: 7E0A4105
	v_exp_f32_e32 v6, v6                                       // 0000000041B8: 7E0C4106
	v_exp_f32_e32 v7, v7                                       // 0000000041BC: 7E0E4107
	v_add_f32_e64 v4, v4, 1.0                                  // 0000000041C0: D1010004 0001E504
	v_add_f32_e64 v5, v5, 1.0                                  // 0000000041C8: D1010005 0001E505
	v_add_f32_e64 v6, v6, 1.0                                  // 0000000041D0: D1010006 0001E506
	v_add_f32_e64 v7, v7, 1.0                                  // 0000000041D8: D1010007 0001E507
	v_rcp_f32_e32 v4, v4                                       // 0000000041E0: 7E084504
	v_rcp_f32_e32 v5, v5                                       // 0000000041E4: 7E0A4505
	v_rcp_f32_e32 v6, v6                                       // 0000000041E8: 7E0C4506
	v_rcp_f32_e32 v7, v7                                       // 0000000041EC: 7E0E4507
	v_mul_f32_e32 v68, v68, v4                                 // 0000000041F0: 0A880944
	v_mul_f32_e32 v69, v69, v5                                 // 0000000041F4: 0A8A0B45
	v_mul_f32_e32 v70, v70, v6                                 // 0000000041F8: 0A8C0D46
	v_mul_f32_e32 v71, v71, v7                                 // 0000000041FC: 0A8E0F47
	v_mul_f32_e32 v68, v68, v92                                // 000000004200: 0A88B944
	v_mul_f32_e32 v69, v69, v93                                // 000000004204: 0A8ABB45
	v_mul_f32_e32 v70, v70, v94                                // 000000004208: 0A8CBD46
	v_mul_f32_e32 v71, v71, v95                                // 00000000420C: 0A8EBF47
	v_mul_f32_e64 v4, -v72, s6                                 // 000000004210: D1050004 20000D48
	v_mul_f32_e64 v5, -v73, s6                                 // 000000004218: D1050005 20000D49
	v_mul_f32_e64 v6, -v74, s6                                 // 000000004220: D1050006 20000D4A
	v_mul_f32_e64 v7, -v75, s6                                 // 000000004228: D1050007 20000D4B
	v_exp_f32_e32 v4, v4                                       // 000000004230: 7E084104
	v_exp_f32_e32 v5, v5                                       // 000000004234: 7E0A4105
	v_exp_f32_e32 v6, v6                                       // 000000004238: 7E0C4106
	v_exp_f32_e32 v7, v7                                       // 00000000423C: 7E0E4107
	v_add_f32_e64 v4, v4, 1.0                                  // 000000004240: D1010004 0001E504
	v_add_f32_e64 v5, v5, 1.0                                  // 000000004248: D1010005 0001E505
	v_add_f32_e64 v6, v6, 1.0                                  // 000000004250: D1010006 0001E506
	v_add_f32_e64 v7, v7, 1.0                                  // 000000004258: D1010007 0001E507
	v_rcp_f32_e32 v4, v4                                       // 000000004260: 7E084504
	v_rcp_f32_e32 v5, v5                                       // 000000004264: 7E0A4505
	v_rcp_f32_e32 v6, v6                                       // 000000004268: 7E0C4506
	v_rcp_f32_e32 v7, v7                                       // 00000000426C: 7E0E4507
	v_mul_f32_e32 v72, v72, v4                                 // 000000004270: 0A900948
	v_mul_f32_e32 v73, v73, v5                                 // 000000004274: 0A920B49
	v_mul_f32_e32 v74, v74, v6                                 // 000000004278: 0A940D4A
	v_mul_f32_e32 v75, v75, v7                                 // 00000000427C: 0A960F4B
	v_mul_f32_e32 v72, v72, v96                                // 000000004280: 0A90C148
	v_mul_f32_e32 v73, v73, v97                                // 000000004284: 0A92C349
	v_mul_f32_e32 v74, v74, v98                                // 000000004288: 0A94C54A
	v_mul_f32_e32 v75, v75, v99                                // 00000000428C: 0A96C74B
	v_mul_f32_e64 v4, -v76, s6                                 // 000000004290: D1050004 20000D4C
	v_mul_f32_e64 v5, -v77, s6                                 // 000000004298: D1050005 20000D4D
	v_mul_f32_e64 v6, -v78, s6                                 // 0000000042A0: D1050006 20000D4E
	v_mul_f32_e64 v7, -v79, s6                                 // 0000000042A8: D1050007 20000D4F
	v_exp_f32_e32 v4, v4                                       // 0000000042B0: 7E084104
	v_exp_f32_e32 v5, v5                                       // 0000000042B4: 7E0A4105
	v_exp_f32_e32 v6, v6                                       // 0000000042B8: 7E0C4106
	v_exp_f32_e32 v7, v7                                       // 0000000042BC: 7E0E4107
	v_add_f32_e64 v4, v4, 1.0                                  // 0000000042C0: D1010004 0001E504
	v_add_f32_e64 v5, v5, 1.0                                  // 0000000042C8: D1010005 0001E505
	v_add_f32_e64 v6, v6, 1.0                                  // 0000000042D0: D1010006 0001E506
	v_add_f32_e64 v7, v7, 1.0                                  // 0000000042D8: D1010007 0001E507
	v_rcp_f32_e32 v4, v4                                       // 0000000042E0: 7E084504
	v_rcp_f32_e32 v5, v5                                       // 0000000042E4: 7E0A4505
	v_rcp_f32_e32 v6, v6                                       // 0000000042E8: 7E0C4506
	v_rcp_f32_e32 v7, v7                                       // 0000000042EC: 7E0E4507
	v_mul_f32_e32 v76, v76, v4                                 // 0000000042F0: 0A98094C
	v_mul_f32_e32 v77, v77, v5                                 // 0000000042F4: 0A9A0B4D
	v_mul_f32_e32 v78, v78, v6                                 // 0000000042F8: 0A9C0D4E
	v_mul_f32_e32 v79, v79, v7                                 // 0000000042FC: 0A9E0F4F
	v_mul_f32_e32 v76, v76, v100                               // 000000004300: 0A98C94C
	v_mul_f32_e32 v77, v77, v101                               // 000000004304: 0A9ACB4D
	v_mul_f32_e32 v78, v78, v102                               // 000000004308: 0A9CCD4E
	v_mul_f32_e32 v79, v79, v103                               // 00000000430C: 0A9ECF4F
	v_mul_f32_e64 v4, -v80, s6                                 // 000000004310: D1050004 20000D50
	v_mul_f32_e64 v5, -v81, s6                                 // 000000004318: D1050005 20000D51
	v_mul_f32_e64 v6, -v82, s6                                 // 000000004320: D1050006 20000D52
	v_mul_f32_e64 v7, -v83, s6                                 // 000000004328: D1050007 20000D53
	v_exp_f32_e32 v4, v4                                       // 000000004330: 7E084104
	v_exp_f32_e32 v5, v5                                       // 000000004334: 7E0A4105
	v_exp_f32_e32 v6, v6                                       // 000000004338: 7E0C4106
	v_exp_f32_e32 v7, v7                                       // 00000000433C: 7E0E4107
	v_add_f32_e64 v4, v4, 1.0                                  // 000000004340: D1010004 0001E504
	v_add_f32_e64 v5, v5, 1.0                                  // 000000004348: D1010005 0001E505
	v_add_f32_e64 v6, v6, 1.0                                  // 000000004350: D1010006 0001E506
	v_add_f32_e64 v7, v7, 1.0                                  // 000000004358: D1010007 0001E507
	v_rcp_f32_e32 v4, v4                                       // 000000004360: 7E084504
	v_rcp_f32_e32 v5, v5                                       // 000000004364: 7E0A4505
	v_rcp_f32_e32 v6, v6                                       // 000000004368: 7E0C4506
	v_rcp_f32_e32 v7, v7                                       // 00000000436C: 7E0E4507
	v_mul_f32_e32 v80, v80, v4                                 // 000000004370: 0AA00950
	v_mul_f32_e32 v81, v81, v5                                 // 000000004374: 0AA20B51
	v_mul_f32_e32 v82, v82, v6                                 // 000000004378: 0AA40D52
	v_mul_f32_e32 v83, v83, v7                                 // 00000000437C: 0AA60F53
	v_mul_f32_e32 v80, v80, v104                               // 000000004380: 0AA0D150
	v_mul_f32_e32 v81, v81, v105                               // 000000004384: 0AA2D351
	v_mul_f32_e32 v82, v82, v106                               // 000000004388: 0AA4D552
	v_mul_f32_e32 v83, v83, v107                               // 00000000438C: 0AA6D753
	v_mul_f32_e64 v4, -v84, s6                                 // 000000004390: D1050004 20000D54
	v_mul_f32_e64 v5, -v85, s6                                 // 000000004398: D1050005 20000D55
	v_mul_f32_e64 v6, -v86, s6                                 // 0000000043A0: D1050006 20000D56
	v_mul_f32_e64 v7, -v87, s6                                 // 0000000043A8: D1050007 20000D57
	v_exp_f32_e32 v4, v4                                       // 0000000043B0: 7E084104
	v_exp_f32_e32 v5, v5                                       // 0000000043B4: 7E0A4105
	v_exp_f32_e32 v6, v6                                       // 0000000043B8: 7E0C4106
	v_exp_f32_e32 v7, v7                                       // 0000000043BC: 7E0E4107
	v_add_f32_e64 v4, v4, 1.0                                  // 0000000043C0: D1010004 0001E504
	v_add_f32_e64 v5, v5, 1.0                                  // 0000000043C8: D1010005 0001E505
	v_add_f32_e64 v6, v6, 1.0                                  // 0000000043D0: D1010006 0001E506
	v_add_f32_e64 v7, v7, 1.0                                  // 0000000043D8: D1010007 0001E507
	v_rcp_f32_e32 v4, v4                                       // 0000000043E0: 7E084504
	v_rcp_f32_e32 v5, v5                                       // 0000000043E4: 7E0A4505
	v_rcp_f32_e32 v6, v6                                       // 0000000043E8: 7E0C4506
	v_rcp_f32_e32 v7, v7                                       // 0000000043EC: 7E0E4507
	v_mul_f32_e32 v84, v84, v4                                 // 0000000043F0: 0AA80954
	v_mul_f32_e32 v85, v85, v5                                 // 0000000043F4: 0AAA0B55
	v_mul_f32_e32 v86, v86, v6                                 // 0000000043F8: 0AAC0D56
	v_mul_f32_e32 v87, v87, v7                                 // 0000000043FC: 0AAE0F57
	v_mul_f32_e32 v84, v84, v108                               // 000000004400: 0AA8D954
	v_mul_f32_e32 v85, v85, v109                               // 000000004404: 0AAADB55
	v_mul_f32_e32 v86, v86, v110                               // 000000004408: 0AACDD56
	v_mul_f32_e32 v87, v87, v111                               // 00000000440C: 0AAEDF57
	v_mul_f32_e64 v4, -v88, s6                                 // 000000004410: D1050004 20000D58
	v_mul_f32_e64 v5, -v89, s6                                 // 000000004418: D1050005 20000D59
	v_mul_f32_e64 v6, -v90, s6                                 // 000000004420: D1050006 20000D5A
	v_mul_f32_e64 v7, -v91, s6                                 // 000000004428: D1050007 20000D5B
	v_exp_f32_e32 v4, v4                                       // 000000004430: 7E084104
	v_exp_f32_e32 v5, v5                                       // 000000004434: 7E0A4105
	v_exp_f32_e32 v6, v6                                       // 000000004438: 7E0C4106
	v_exp_f32_e32 v7, v7                                       // 00000000443C: 7E0E4107
	v_add_f32_e64 v4, v4, 1.0                                  // 000000004440: D1010004 0001E504
	v_add_f32_e64 v5, v5, 1.0                                  // 000000004448: D1010005 0001E505
	v_add_f32_e64 v6, v6, 1.0                                  // 000000004450: D1010006 0001E506
	v_add_f32_e64 v7, v7, 1.0                                  // 000000004458: D1010007 0001E507
	v_rcp_f32_e32 v4, v4                                       // 000000004460: 7E084504
	v_rcp_f32_e32 v5, v5                                       // 000000004464: 7E0A4505
	v_rcp_f32_e32 v6, v6                                       // 000000004468: 7E0C4506
	v_rcp_f32_e32 v7, v7                                       // 00000000446C: 7E0E4507
	v_mul_f32_e32 v88, v88, v4                                 // 000000004470: 0AB00958
	v_mul_f32_e32 v89, v89, v5                                 // 000000004474: 0AB20B59
	v_mul_f32_e32 v90, v90, v6                                 // 000000004478: 0AB40D5A
	v_mul_f32_e32 v91, v91, v7                                 // 00000000447C: 0AB60F5B
	v_mul_f32_e32 v88, v88, v112                               // 000000004480: 0AB0E158
	v_mul_f32_e32 v89, v89, v113                               // 000000004484: 0AB2E359
	v_mul_f32_e32 v90, v90, v114                               // 000000004488: 0AB4E55A
	v_mul_f32_e32 v91, v91, v115                               // 00000000448C: 0AB6E75B

0000000000004490 <label_06A4>:
	v_cmp_u_f32_e64 s[46:47], v68, v68                         // 000000004490: D048002E 00028944
	v_add3_u32 v16, v68, v19, 1                                // 000000004498: D1FF0010 02062744
	v_cndmask_b32_e64 v4, v16, v18, s[46:47]                   // 0000000044A0: D1000004 00BA2510
	v_cmp_u_f32_e64 s[46:47], v69, v69                         // 0000000044A8: D048002E 00028B45
	v_add3_u32 v16, v69, v19, 1                                // 0000000044B0: D1FF0010 02062745
	v_cndmask_b32_e64 v5, v16, v18, s[46:47]                   // 0000000044B8: D1000005 00BA2510
	v_perm_b32 v68, v5, v4, s52                                // 0000000044C0: D1ED0044 00D20905
	v_cmp_u_f32_e64 s[46:47], v70, v70                         // 0000000044C8: D048002E 00028D46
	v_add3_u32 v16, v70, v19, 1                                // 0000000044D0: D1FF0010 02062746
	v_cndmask_b32_e64 v4, v16, v18, s[46:47]                   // 0000000044D8: D1000004 00BA2510
	v_cmp_u_f32_e64 s[46:47], v71, v71                         // 0000000044E0: D048002E 00028F47
	v_add3_u32 v16, v71, v19, 1                                // 0000000044E8: D1FF0010 02062747
	v_cndmask_b32_e64 v5, v16, v18, s[46:47]                   // 0000000044F0: D1000005 00BA2510
	v_perm_b32 v69, v5, v4, s52                                // 0000000044F8: D1ED0045 00D20905
	v_cmp_u_f32_e64 s[46:47], v72, v72                         // 000000004500: D048002E 00029148
	v_add3_u32 v16, v72, v19, 1                                // 000000004508: D1FF0010 02062748
	v_cndmask_b32_e64 v4, v16, v18, s[46:47]                   // 000000004510: D1000004 00BA2510
	v_cmp_u_f32_e64 s[46:47], v73, v73                         // 000000004518: D048002E 00029349
	v_add3_u32 v16, v73, v19, 1                                // 000000004520: D1FF0010 02062749
	v_cndmask_b32_e64 v5, v16, v18, s[46:47]                   // 000000004528: D1000005 00BA2510
	v_perm_b32 v70, v5, v4, s52                                // 000000004530: D1ED0046 00D20905
	v_cmp_u_f32_e64 s[46:47], v74, v74                         // 000000004538: D048002E 0002954A
	v_add3_u32 v16, v74, v19, 1                                // 000000004540: D1FF0010 0206274A
	v_cndmask_b32_e64 v4, v16, v18, s[46:47]                   // 000000004548: D1000004 00BA2510
	v_cmp_u_f32_e64 s[46:47], v75, v75                         // 000000004550: D048002E 0002974B
	v_add3_u32 v16, v75, v19, 1                                // 000000004558: D1FF0010 0206274B
	v_cndmask_b32_e64 v5, v16, v18, s[46:47]                   // 000000004560: D1000005 00BA2510
	v_perm_b32 v71, v5, v4, s52                                // 000000004568: D1ED0047 00D20905
	v_cmp_u_f32_e64 s[46:47], v76, v76                         // 000000004570: D048002E 0002994C
	v_add3_u32 v16, v76, v19, 1                                // 000000004578: D1FF0010 0206274C
	v_cndmask_b32_e64 v4, v16, v18, s[46:47]                   // 000000004580: D1000004 00BA2510
	v_cmp_u_f32_e64 s[46:47], v77, v77                         // 000000004588: D048002E 00029B4D
	v_add3_u32 v16, v77, v19, 1                                // 000000004590: D1FF0010 0206274D
	v_cndmask_b32_e64 v5, v16, v18, s[46:47]                   // 000000004598: D1000005 00BA2510
	v_perm_b32 v72, v5, v4, s52                                // 0000000045A0: D1ED0048 00D20905
	v_cmp_u_f32_e64 s[46:47], v78, v78                         // 0000000045A8: D048002E 00029D4E
	v_add3_u32 v16, v78, v19, 1                                // 0000000045B0: D1FF0010 0206274E
	v_cndmask_b32_e64 v4, v16, v18, s[46:47]                   // 0000000045B8: D1000004 00BA2510
	v_cmp_u_f32_e64 s[46:47], v79, v79                         // 0000000045C0: D048002E 00029F4F
	v_add3_u32 v16, v79, v19, 1                                // 0000000045C8: D1FF0010 0206274F
	v_cndmask_b32_e64 v5, v16, v18, s[46:47]                   // 0000000045D0: D1000005 00BA2510
	v_perm_b32 v73, v5, v4, s52                                // 0000000045D8: D1ED0049 00D20905
	v_cmp_u_f32_e64 s[46:47], v80, v80                         // 0000000045E0: D048002E 0002A150
	v_add3_u32 v16, v80, v19, 1                                // 0000000045E8: D1FF0010 02062750
	v_cndmask_b32_e64 v4, v16, v18, s[46:47]                   // 0000000045F0: D1000004 00BA2510
	v_cmp_u_f32_e64 s[46:47], v81, v81                         // 0000000045F8: D048002E 0002A351
	v_add3_u32 v16, v81, v19, 1                                // 000000004600: D1FF0010 02062751
	v_cndmask_b32_e64 v5, v16, v18, s[46:47]                   // 000000004608: D1000005 00BA2510
	v_perm_b32 v74, v5, v4, s52                                // 000000004610: D1ED004A 00D20905
	v_cmp_u_f32_e64 s[46:47], v82, v82                         // 000000004618: D048002E 0002A552
	v_add3_u32 v16, v82, v19, 1                                // 000000004620: D1FF0010 02062752
	v_cndmask_b32_e64 v4, v16, v18, s[46:47]                   // 000000004628: D1000004 00BA2510
	v_cmp_u_f32_e64 s[46:47], v83, v83                         // 000000004630: D048002E 0002A753
	v_add3_u32 v16, v83, v19, 1                                // 000000004638: D1FF0010 02062753
	v_cndmask_b32_e64 v5, v16, v18, s[46:47]                   // 000000004640: D1000005 00BA2510
	v_perm_b32 v75, v5, v4, s52                                // 000000004648: D1ED004B 00D20905
	v_cmp_u_f32_e64 s[46:47], v84, v84                         // 000000004650: D048002E 0002A954
	v_add3_u32 v16, v84, v19, 1                                // 000000004658: D1FF0010 02062754
	v_cndmask_b32_e64 v4, v16, v18, s[46:47]                   // 000000004660: D1000004 00BA2510
	v_cmp_u_f32_e64 s[46:47], v85, v85                         // 000000004668: D048002E 0002AB55
	v_add3_u32 v16, v85, v19, 1                                // 000000004670: D1FF0010 02062755
	v_cndmask_b32_e64 v5, v16, v18, s[46:47]                   // 000000004678: D1000005 00BA2510
	v_perm_b32 v76, v5, v4, s52                                // 000000004680: D1ED004C 00D20905
	v_cmp_u_f32_e64 s[46:47], v86, v86                         // 000000004688: D048002E 0002AD56
	v_add3_u32 v16, v86, v19, 1                                // 000000004690: D1FF0010 02062756
	v_cndmask_b32_e64 v4, v16, v18, s[46:47]                   // 000000004698: D1000004 00BA2510
	v_cmp_u_f32_e64 s[46:47], v87, v87                         // 0000000046A0: D048002E 0002AF57
	v_add3_u32 v16, v87, v19, 1                                // 0000000046A8: D1FF0010 02062757
	v_cndmask_b32_e64 v5, v16, v18, s[46:47]                   // 0000000046B0: D1000005 00BA2510
	v_perm_b32 v77, v5, v4, s52                                // 0000000046B8: D1ED004D 00D20905
	v_cmp_u_f32_e64 s[46:47], v88, v88                         // 0000000046C0: D048002E 0002B158
	v_add3_u32 v16, v88, v19, 1                                // 0000000046C8: D1FF0010 02062758
	v_cndmask_b32_e64 v4, v16, v18, s[46:47]                   // 0000000046D0: D1000004 00BA2510
	v_cmp_u_f32_e64 s[46:47], v89, v89                         // 0000000046D8: D048002E 0002B359
	v_add3_u32 v16, v89, v19, 1                                // 0000000046E0: D1FF0010 02062759
	v_cndmask_b32_e64 v5, v16, v18, s[46:47]                   // 0000000046E8: D1000005 00BA2510
	v_perm_b32 v78, v5, v4, s52                                // 0000000046F0: D1ED004E 00D20905
	v_cmp_u_f32_e64 s[46:47], v90, v90                         // 0000000046F8: D048002E 0002B55A
	v_add3_u32 v16, v90, v19, 1                                // 000000004700: D1FF0010 0206275A
	v_cndmask_b32_e64 v4, v16, v18, s[46:47]                   // 000000004708: D1000004 00BA2510
	v_cmp_u_f32_e64 s[46:47], v91, v91                         // 000000004710: D048002E 0002B75B
	v_add3_u32 v16, v91, v19, 1                                // 000000004718: D1FF0010 0206275B
	v_cndmask_b32_e64 v5, v16, v18, s[46:47]                   // 000000004720: D1000005 00BA2510
	v_perm_b32 v79, v5, v4, s52                                // 000000004728: D1ED004F 00D20905
	ds_write_b64 v20, v[68:69]                                 // 000000004730: D89A0000 00004414
	ds_write_b64 v20, v[70:71] offset:2176                     // 000000004738: D89A0880 00004614
	ds_write_b64 v20, v[72:73] offset:4352                     // 000000004740: D89A1100 00004814
	ds_write_b64 v20, v[74:75] offset:6528                     // 000000004748: D89A1980 00004A14
	ds_write_b64 v20, v[76:77] offset:8704                     // 000000004750: D89A2200 00004C14
	ds_write_b64 v20, v[78:79] offset:10880                    // 000000004758: D89A2A80 00004E14
	v_lshrrev_b32_e32 v4, 5, v0                                // 000000004760: 20080085
	v_xor_b32_e32 v5, 1, v4                                    // 000000004764: 2A0A0881
	s_mul_i32 s60, s65, 2                                      // 000000004768: 923C8241
	s_cmp_eq_u32 s88, 0                                        // 00000000476C: BF068058
	s_cselect_b32 s61, 1, 4                                    // 000000004770: 853D8481
	s_mul_i32 s60, s61, s60                                    // 000000004774: 923C3C3D
	v_readlane_b32 s82, v3, 0                                  // 000000004778: D2890052 00010103
	s_lshr_b32 s61, s82, 24                                    // 000000004780: 8F3D9852
	s_and_b32 s82, s82, 0xffffff                               // 000000004784: 8652FF52 00FFFFFF
	s_mul_i32 s82, s82, s71                                    // 00000000478C: 92524752
	s_mul_i32 s61, s60, s61                                    // 000000004790: 923D3D3C
	s_add_u32 s82, s82, s61                                    // 000000004794: 80523D52
	v_mul_lo_u32 v6, v5, s82                                   // 000000004798: D2850006 0000A505
	v_readlane_b32 s82, v3, 1                                  // 0000000047A0: D2890052 00010303
	s_lshr_b32 s61, s82, 24                                    // 0000000047A8: 8F3D9852
	s_and_b32 s82, s82, 0xffffff                               // 0000000047AC: 8652FF52 00FFFFFF
	s_mul_i32 s82, s82, s71                                    // 0000000047B4: 92524752
	s_mul_i32 s61, s60, s61                                    // 0000000047B8: 923D3D3C
	s_add_u32 s82, s82, s61                                    // 0000000047BC: 80523D52
	v_mul_lo_u32 v7, v4, s82                                   // 0000000047C0: D2850007 0000A504
	v_add_u32_e32 v52, v6, v7                                  // 0000000047C8: 68680F06
	v_readlane_b32 s82, v3, 2                                  // 0000000047CC: D2890052 00010503
	s_lshr_b32 s61, s82, 24                                    // 0000000047D4: 8F3D9852
	s_and_b32 s82, s82, 0xffffff                               // 0000000047D8: 8652FF52 00FFFFFF
	s_mul_i32 s82, s82, s71                                    // 0000000047E0: 92524752
	s_mul_i32 s61, s60, s61                                    // 0000000047E4: 923D3D3C
	s_add_u32 s82, s82, s61                                    // 0000000047E8: 80523D52
	v_mul_lo_u32 v6, v5, s82                                   // 0000000047EC: D2850006 0000A505
	v_readlane_b32 s82, v3, 3                                  // 0000000047F4: D2890052 00010703
	s_lshr_b32 s61, s82, 24                                    // 0000000047FC: 8F3D9852
	s_and_b32 s82, s82, 0xffffff                               // 000000004800: 8652FF52 00FFFFFF
	s_mul_i32 s82, s82, s71                                    // 000000004808: 92524752
	s_mul_i32 s61, s60, s61                                    // 00000000480C: 923D3D3C
	s_add_u32 s82, s82, s61                                    // 000000004810: 80523D52
	v_mul_lo_u32 v7, v4, s82                                   // 000000004814: D2850007 0000A504
	v_add_u32_e32 v53, v6, v7                                  // 00000000481C: 686A0F06
	v_readlane_b32 s82, v3, 4                                  // 000000004820: D2890052 00010903
	s_lshr_b32 s61, s82, 24                                    // 000000004828: 8F3D9852
	s_and_b32 s82, s82, 0xffffff                               // 00000000482C: 8652FF52 00FFFFFF
	s_mul_i32 s82, s82, s71                                    // 000000004834: 92524752
	s_mul_i32 s61, s60, s61                                    // 000000004838: 923D3D3C
	s_add_u32 s82, s82, s61                                    // 00000000483C: 80523D52
	v_mul_lo_u32 v6, v5, s82                                   // 000000004840: D2850006 0000A505
	v_readlane_b32 s82, v3, 5                                  // 000000004848: D2890052 00010B03
	s_lshr_b32 s61, s82, 24                                    // 000000004850: 8F3D9852
	s_and_b32 s82, s82, 0xffffff                               // 000000004854: 8652FF52 00FFFFFF
	s_mul_i32 s82, s82, s71                                    // 00000000485C: 92524752
	s_mul_i32 s61, s60, s61                                    // 000000004860: 923D3D3C
	s_add_u32 s82, s82, s61                                    // 000000004864: 80523D52
	v_mul_lo_u32 v7, v4, s82                                   // 000000004868: D2850007 0000A504
	v_add_u32_e32 v54, v6, v7                                  // 000000004870: 686C0F06
	v_readlane_b32 s82, v3, 6                                  // 000000004874: D2890052 00010D03
	s_lshr_b32 s61, s82, 24                                    // 00000000487C: 8F3D9852
	s_and_b32 s82, s82, 0xffffff                               // 000000004880: 8652FF52 00FFFFFF
	s_mul_i32 s82, s82, s71                                    // 000000004888: 92524752
	s_mul_i32 s61, s60, s61                                    // 00000000488C: 923D3D3C
	s_add_u32 s82, s82, s61                                    // 000000004890: 80523D52
	v_mul_lo_u32 v6, v5, s82                                   // 000000004894: D2850006 0000A505
	v_readlane_b32 s82, v3, 7                                  // 00000000489C: D2890052 00010F03
	s_lshr_b32 s61, s82, 24                                    // 0000000048A4: 8F3D9852
	s_and_b32 s82, s82, 0xffffff                               // 0000000048A8: 8652FF52 00FFFFFF
	s_mul_i32 s82, s82, s71                                    // 0000000048B0: 92524752
	s_mul_i32 s61, s60, s61                                    // 0000000048B4: 923D3D3C
	s_add_u32 s82, s82, s61                                    // 0000000048B8: 80523D52
	v_mul_lo_u32 v7, v4, s82                                   // 0000000048BC: D2850007 0000A504
	v_add_u32_e32 v55, v6, v7                                  // 0000000048C4: 686E0F06
	v_readlane_b32 s82, v3, 8                                  // 0000000048C8: D2890052 00011103
	s_lshr_b32 s61, s82, 24                                    // 0000000048D0: 8F3D9852
	s_and_b32 s82, s82, 0xffffff                               // 0000000048D4: 8652FF52 00FFFFFF
	s_mul_i32 s82, s82, s71                                    // 0000000048DC: 92524752
	s_mul_i32 s61, s60, s61                                    // 0000000048E0: 923D3D3C
	s_add_u32 s82, s82, s61                                    // 0000000048E4: 80523D52
	v_mul_lo_u32 v6, v5, s82                                   // 0000000048E8: D2850006 0000A505
	v_readlane_b32 s82, v3, 9                                  // 0000000048F0: D2890052 00011303
	s_lshr_b32 s61, s82, 24                                    // 0000000048F8: 8F3D9852
	s_and_b32 s82, s82, 0xffffff                               // 0000000048FC: 8652FF52 00FFFFFF
	s_mul_i32 s82, s82, s71                                    // 000000004904: 92524752
	s_mul_i32 s61, s60, s61                                    // 000000004908: 923D3D3C
	s_add_u32 s82, s82, s61                                    // 00000000490C: 80523D52
	v_mul_lo_u32 v7, v4, s82                                   // 000000004910: D2850007 0000A504
	v_add_u32_e32 v56, v6, v7                                  // 000000004918: 68700F06
	v_readlane_b32 s82, v3, 10                                 // 00000000491C: D2890052 00011503
	s_lshr_b32 s61, s82, 24                                    // 000000004924: 8F3D9852
	s_and_b32 s82, s82, 0xffffff                               // 000000004928: 8652FF52 00FFFFFF
	s_mul_i32 s82, s82, s71                                    // 000000004930: 92524752
	s_mul_i32 s61, s60, s61                                    // 000000004934: 923D3D3C
	s_add_u32 s82, s82, s61                                    // 000000004938: 80523D52
	v_mul_lo_u32 v6, v5, s82                                   // 00000000493C: D2850006 0000A505
	v_readlane_b32 s82, v3, 11                                 // 000000004944: D2890052 00011703
	s_lshr_b32 s61, s82, 24                                    // 00000000494C: 8F3D9852
	s_and_b32 s82, s82, 0xffffff                               // 000000004950: 8652FF52 00FFFFFF
	s_mul_i32 s82, s82, s71                                    // 000000004958: 92524752
	s_mul_i32 s61, s60, s61                                    // 00000000495C: 923D3D3C
	s_add_u32 s82, s82, s61                                    // 000000004960: 80523D52
	v_mul_lo_u32 v7, v4, s82                                   // 000000004964: D2850007 0000A504
	v_add_u32_e32 v57, v6, v7                                  // 00000000496C: 68720F06
	v_readlane_b32 s82, v3, 12                                 // 000000004970: D2890052 00011903
	s_lshr_b32 s61, s82, 24                                    // 000000004978: 8F3D9852
	s_and_b32 s82, s82, 0xffffff                               // 00000000497C: 8652FF52 00FFFFFF
	s_mul_i32 s82, s82, s71                                    // 000000004984: 92524752
	s_mul_i32 s61, s60, s61                                    // 000000004988: 923D3D3C
	s_add_u32 s82, s82, s61                                    // 00000000498C: 80523D52
	v_mul_lo_u32 v6, v5, s82                                   // 000000004990: D2850006 0000A505
	v_readlane_b32 s82, v3, 13                                 // 000000004998: D2890052 00011B03
	s_lshr_b32 s61, s82, 24                                    // 0000000049A0: 8F3D9852
	s_and_b32 s82, s82, 0xffffff                               // 0000000049A4: 8652FF52 00FFFFFF
	s_mul_i32 s82, s82, s71                                    // 0000000049AC: 92524752
	s_mul_i32 s61, s60, s61                                    // 0000000049B0: 923D3D3C
	s_add_u32 s82, s82, s61                                    // 0000000049B4: 80523D52
	v_mul_lo_u32 v7, v4, s82                                   // 0000000049B8: D2850007 0000A504
	v_add_u32_e32 v58, v6, v7                                  // 0000000049C0: 68740F06
	v_readlane_b32 s82, v3, 14                                 // 0000000049C4: D2890052 00011D03
	s_lshr_b32 s61, s82, 24                                    // 0000000049CC: 8F3D9852
	s_and_b32 s82, s82, 0xffffff                               // 0000000049D0: 8652FF52 00FFFFFF
	s_mul_i32 s82, s82, s71                                    // 0000000049D8: 92524752
	s_mul_i32 s61, s60, s61                                    // 0000000049DC: 923D3D3C
	s_add_u32 s82, s82, s61                                    // 0000000049E0: 80523D52
	v_mul_lo_u32 v6, v5, s82                                   // 0000000049E4: D2850006 0000A505
	v_readlane_b32 s82, v3, 15                                 // 0000000049EC: D2890052 00011F03
	s_lshr_b32 s61, s82, 24                                    // 0000000049F4: 8F3D9852
	s_and_b32 s82, s82, 0xffffff                               // 0000000049F8: 8652FF52 00FFFFFF
	s_mul_i32 s82, s82, s71                                    // 000000004A00: 92524752
	s_mul_i32 s61, s60, s61                                    // 000000004A04: 923D3D3C
	s_add_u32 s82, s82, s61                                    // 000000004A08: 80523D52
	v_mul_lo_u32 v7, v4, s82                                   // 000000004A0C: D2850007 0000A504
	v_add_u32_e32 v59, v6, v7                                  // 000000004A14: 68760F06
	v_readlane_b32 s82, v3, 16                                 // 000000004A18: D2890052 00012103
	s_lshr_b32 s61, s82, 24                                    // 000000004A20: 8F3D9852
	s_and_b32 s82, s82, 0xffffff                               // 000000004A24: 8652FF52 00FFFFFF
	s_mul_i32 s82, s82, s71                                    // 000000004A2C: 92524752
	s_mul_i32 s61, s60, s61                                    // 000000004A30: 923D3D3C
	s_add_u32 s82, s82, s61                                    // 000000004A34: 80523D52
	v_mul_lo_u32 v6, v5, s82                                   // 000000004A38: D2850006 0000A505
	v_readlane_b32 s82, v3, 17                                 // 000000004A40: D2890052 00012303
	s_lshr_b32 s61, s82, 24                                    // 000000004A48: 8F3D9852
	s_and_b32 s82, s82, 0xffffff                               // 000000004A4C: 8652FF52 00FFFFFF
	s_mul_i32 s82, s82, s71                                    // 000000004A54: 92524752
	s_mul_i32 s61, s60, s61                                    // 000000004A58: 923D3D3C
	s_add_u32 s82, s82, s61                                    // 000000004A5C: 80523D52
	v_mul_lo_u32 v7, v4, s82                                   // 000000004A60: D2850007 0000A504
	v_add_u32_e32 v60, v6, v7                                  // 000000004A68: 68780F06
	v_readlane_b32 s82, v3, 18                                 // 000000004A6C: D2890052 00012503
	s_lshr_b32 s61, s82, 24                                    // 000000004A74: 8F3D9852
	s_and_b32 s82, s82, 0xffffff                               // 000000004A78: 8652FF52 00FFFFFF
	s_mul_i32 s82, s82, s71                                    // 000000004A80: 92524752
	s_mul_i32 s61, s60, s61                                    // 000000004A84: 923D3D3C
	s_add_u32 s82, s82, s61                                    // 000000004A88: 80523D52
	v_mul_lo_u32 v6, v5, s82                                   // 000000004A8C: D2850006 0000A505
	v_readlane_b32 s82, v3, 19                                 // 000000004A94: D2890052 00012703
	s_lshr_b32 s61, s82, 24                                    // 000000004A9C: 8F3D9852
	s_and_b32 s82, s82, 0xffffff                               // 000000004AA0: 8652FF52 00FFFFFF
	s_mul_i32 s82, s82, s71                                    // 000000004AA8: 92524752
	s_mul_i32 s61, s60, s61                                    // 000000004AAC: 923D3D3C
	s_add_u32 s82, s82, s61                                    // 000000004AB0: 80523D52
	v_mul_lo_u32 v7, v4, s82                                   // 000000004AB4: D2850007 0000A504
	v_add_u32_e32 v61, v6, v7                                  // 000000004ABC: 687A0F06
	v_readlane_b32 s82, v3, 20                                 // 000000004AC0: D2890052 00012903
	s_lshr_b32 s61, s82, 24                                    // 000000004AC8: 8F3D9852
	s_and_b32 s82, s82, 0xffffff                               // 000000004ACC: 8652FF52 00FFFFFF
	s_mul_i32 s82, s82, s71                                    // 000000004AD4: 92524752
	s_mul_i32 s61, s60, s61                                    // 000000004AD8: 923D3D3C
	s_add_u32 s82, s82, s61                                    // 000000004ADC: 80523D52
	v_mul_lo_u32 v6, v5, s82                                   // 000000004AE0: D2850006 0000A505
	v_readlane_b32 s82, v3, 21                                 // 000000004AE8: D2890052 00012B03
	s_lshr_b32 s61, s82, 24                                    // 000000004AF0: 8F3D9852
	s_and_b32 s82, s82, 0xffffff                               // 000000004AF4: 8652FF52 00FFFFFF
	s_mul_i32 s82, s82, s71                                    // 000000004AFC: 92524752
	s_mul_i32 s61, s60, s61                                    // 000000004B00: 923D3D3C
	s_add_u32 s82, s82, s61                                    // 000000004B04: 80523D52
	v_mul_lo_u32 v7, v4, s82                                   // 000000004B08: D2850007 0000A504
	v_add_u32_e32 v62, v6, v7                                  // 000000004B10: 687C0F06
	v_readlane_b32 s82, v3, 22                                 // 000000004B14: D2890052 00012D03
	s_lshr_b32 s61, s82, 24                                    // 000000004B1C: 8F3D9852
	s_and_b32 s82, s82, 0xffffff                               // 000000004B20: 8652FF52 00FFFFFF
	s_mul_i32 s82, s82, s71                                    // 000000004B28: 92524752
	s_mul_i32 s61, s60, s61                                    // 000000004B2C: 923D3D3C
	s_add_u32 s82, s82, s61                                    // 000000004B30: 80523D52
	v_mul_lo_u32 v6, v5, s82                                   // 000000004B34: D2850006 0000A505
	v_readlane_b32 s82, v3, 23                                 // 000000004B3C: D2890052 00012F03
	s_lshr_b32 s61, s82, 24                                    // 000000004B44: 8F3D9852
	s_and_b32 s82, s82, 0xffffff                               // 000000004B48: 8652FF52 00FFFFFF
	s_mul_i32 s82, s82, s71                                    // 000000004B50: 92524752
	s_mul_i32 s61, s60, s61                                    // 000000004B54: 923D3D3C
	s_add_u32 s82, s82, s61                                    // 000000004B58: 80523D52
	v_mul_lo_u32 v7, v4, s82                                   // 000000004B5C: D2850007 0000A504
	v_add_u32_e32 v63, v6, v7                                  // 000000004B64: 687E0F06
	v_and_b32_e32 v4, 31, v0                                   // 000000004B68: 2608009F
	v_lshrrev_b32_e32 v4, 1, v4                                // 000000004B6C: 20080881
	s_cmp_eq_u32 s88, 0                                        // 000000004B70: BF068058
	s_cselect_b32 s61, 2, 4                                    // 000000004B74: 853D8482
	v_mul_lo_u32 v4, v4, s61                                   // 000000004B78: D2850004 00007B04
	v_and_b32_e64 v5, v0, 1                                    // 000000004B80: D1130005 00010300
	v_add_u32_e32 v4, v4, v5                                   // 000000004B88: 68080B04
	v_lshlrev_b32_e32 v4, 2, v4                                // 000000004B8C: 24080882
	v_add_u32_e32 v52, v52, v4                                 // 000000004B90: 68680934
	v_add_u32_e32 v53, v53, v4                                 // 000000004B94: 686A0935
	v_add_u32_e32 v54, v54, v4                                 // 000000004B98: 686C0936
	v_add_u32_e32 v55, v55, v4                                 // 000000004B9C: 686E0937
	v_add_u32_e32 v56, v56, v4                                 // 000000004BA0: 68700938
	v_add_u32_e32 v57, v57, v4                                 // 000000004BA4: 68720939
	v_add_u32_e32 v58, v58, v4                                 // 000000004BA8: 6874093A
	v_add_u32_e32 v59, v59, v4                                 // 000000004BAC: 6876093B
	v_add_u32_e32 v60, v60, v4                                 // 000000004BB0: 6878093C
	v_add_u32_e32 v61, v61, v4                                 // 000000004BB4: 687A093D
	v_add_u32_e32 v62, v62, v4                                 // 000000004BB8: 687C093E
	v_add_u32_e32 v63, v63, v4                                 // 000000004BBC: 687E093F
	s_waitcnt lgkmcnt(0)                                       // 000000004BC0: BF8CC07F
	s_barrier                                                  // 000000004BC4: BF8A0000
	ds_read_b32 v68, v21                                       // 000000004BC8: D86C0000 44000015
	ds_read_b32 v69, v21 offset:64                             // 000000004BD0: D86C0040 45000015
	ds_read_b32 v70, v21 offset:2176                           // 000000004BD8: D86C0880 46000015
	ds_read_b32 v71, v21 offset:2240                           // 000000004BE0: D86C08C0 47000015
	ds_read_b32 v72, v21 offset:4352                           // 000000004BE8: D86C1100 48000015
	ds_read_b32 v73, v21 offset:4416                           // 000000004BF0: D86C1140 49000015
	ds_read_b32 v74, v21 offset:6528                           // 000000004BF8: D86C1980 4A000015
	ds_read_b32 v75, v21 offset:6592                           // 000000004C00: D86C19C0 4B000015
	ds_read_b32 v76, v21 offset:8704                           // 000000004C08: D86C2200 4C000015
	ds_read_b32 v77, v21 offset:8768                           // 000000004C10: D86C2240 4D000015
	ds_read_b32 v78, v21 offset:10880                          // 000000004C18: D86C2A80 4E000015
	ds_read_b32 v79, v21 offset:10944                          // 000000004C20: D86C2AC0 4F000015
	s_waitcnt lgkmcnt(0)                                       // 000000004C28: BF8CC07F
	s_mov_b32 s36, -1                                          // 000000004C2C: BEA400C1
	s_mov_b32 s37, -1                                          // 000000004C30: BEA500C1
	v_mov_b32_e32 v7, 0                                        // 000000004C34: 7E0E0280
	s_or_b32 s9, s9, 0x40000                                   // 000000004C38: 8709FF09 00040000
	s_mov_b64 exec, s[36:37]                                   // 000000004C40: BEFE0124
	v_mov_b32_e32 v6, v52                                      // 000000004C44: 7E0C0334
	s_mov_b64 s[60:61], 0                                      // 000000004C48: BEBC0180
	v_readlane_b32 s82, v3, 0                                  // 000000004C4C: D2890052 00010103
	s_and_b32 s82, s82, 0xffffff                               // 000000004C54: 8652FF52 00FFFFFF
	s_cmp_lt_u32 s82, s66                                      // 000000004C5C: BF0A4252
	s_cselect_b32 s20, s36, s60                                // 000000004C60: 85143C24
	v_readlane_b32 s82, v3, 1                                  // 000000004C64: D2890052 00010303
	s_and_b32 s82, s82, 0xffffff                               // 000000004C6C: 8652FF52 00FFFFFF
	s_cmp_lt_u32 s82, s66                                      // 000000004C74: BF0A4252
	s_cselect_b32 s21, s36, s60                                // 000000004C78: 85153C24
	s_mov_b64 exec, s[20:21]                                   // 000000004C7C: BEFE0114
	buffer_store_dword v68, v6, s[8:11], 0 offen               // 000000004C80: E0701000 80024406
	s_mov_b64 exec, s[36:37]                                   // 000000004C88: BEFE0124
	v_mov_b32_e32 v6, v53                                      // 000000004C8C: 7E0C0335
	s_mov_b64 s[60:61], 0                                      // 000000004C90: BEBC0180
	v_readlane_b32 s82, v3, 2                                  // 000000004C94: D2890052 00010503
	s_and_b32 s82, s82, 0xffffff                               // 000000004C9C: 8652FF52 00FFFFFF
	s_cmp_lt_u32 s82, s66                                      // 000000004CA4: BF0A4252
	s_cselect_b32 s20, s36, s60                                // 000000004CA8: 85143C24
	v_readlane_b32 s82, v3, 3                                  // 000000004CAC: D2890052 00010703
	s_and_b32 s82, s82, 0xffffff                               // 000000004CB4: 8652FF52 00FFFFFF
	s_cmp_lt_u32 s82, s66                                      // 000000004CBC: BF0A4252
	s_cselect_b32 s21, s36, s60                                // 000000004CC0: 85153C24
	s_mov_b64 exec, s[20:21]                                   // 000000004CC4: BEFE0114
	buffer_store_dword v69, v6, s[8:11], 0 offen               // 000000004CC8: E0701000 80024506
	s_mov_b64 exec, s[36:37]                                   // 000000004CD0: BEFE0124
	v_mov_b32_e32 v6, v54                                      // 000000004CD4: 7E0C0336
	s_mov_b64 s[60:61], 0                                      // 000000004CD8: BEBC0180
	v_readlane_b32 s82, v3, 4                                  // 000000004CDC: D2890052 00010903
	s_and_b32 s82, s82, 0xffffff                               // 000000004CE4: 8652FF52 00FFFFFF
	s_cmp_lt_u32 s82, s66                                      // 000000004CEC: BF0A4252
	s_cselect_b32 s20, s36, s60                                // 000000004CF0: 85143C24
	v_readlane_b32 s82, v3, 5                                  // 000000004CF4: D2890052 00010B03
	s_and_b32 s82, s82, 0xffffff                               // 000000004CFC: 8652FF52 00FFFFFF
	s_cmp_lt_u32 s82, s66                                      // 000000004D04: BF0A4252
	s_cselect_b32 s21, s36, s60                                // 000000004D08: 85153C24
	s_mov_b64 exec, s[20:21]                                   // 000000004D0C: BEFE0114
	buffer_store_dword v70, v6, s[8:11], 0 offen               // 000000004D10: E0701000 80024606
	s_mov_b64 exec, s[36:37]                                   // 000000004D18: BEFE0124
	v_mov_b32_e32 v6, v55                                      // 000000004D1C: 7E0C0337
	s_mov_b64 s[60:61], 0                                      // 000000004D20: BEBC0180
	v_readlane_b32 s82, v3, 6                                  // 000000004D24: D2890052 00010D03
	s_and_b32 s82, s82, 0xffffff                               // 000000004D2C: 8652FF52 00FFFFFF
	s_cmp_lt_u32 s82, s66                                      // 000000004D34: BF0A4252
	s_cselect_b32 s20, s36, s60                                // 000000004D38: 85143C24
	v_readlane_b32 s82, v3, 7                                  // 000000004D3C: D2890052 00010F03
	s_and_b32 s82, s82, 0xffffff                               // 000000004D44: 8652FF52 00FFFFFF
	s_cmp_lt_u32 s82, s66                                      // 000000004D4C: BF0A4252
	s_cselect_b32 s21, s36, s60                                // 000000004D50: 85153C24
	s_mov_b64 exec, s[20:21]                                   // 000000004D54: BEFE0114
	buffer_store_dword v71, v6, s[8:11], 0 offen               // 000000004D58: E0701000 80024706
	s_mov_b64 exec, s[36:37]                                   // 000000004D60: BEFE0124
	v_mov_b32_e32 v6, v56                                      // 000000004D64: 7E0C0338
	s_mov_b64 s[60:61], 0                                      // 000000004D68: BEBC0180
	v_readlane_b32 s82, v3, 8                                  // 000000004D6C: D2890052 00011103
	s_and_b32 s82, s82, 0xffffff                               // 000000004D74: 8652FF52 00FFFFFF
	s_cmp_lt_u32 s82, s66                                      // 000000004D7C: BF0A4252
	s_cselect_b32 s20, s36, s60                                // 000000004D80: 85143C24
	v_readlane_b32 s82, v3, 9                                  // 000000004D84: D2890052 00011303
	s_and_b32 s82, s82, 0xffffff                               // 000000004D8C: 8652FF52 00FFFFFF
	s_cmp_lt_u32 s82, s66                                      // 000000004D94: BF0A4252
	s_cselect_b32 s21, s36, s60                                // 000000004D98: 85153C24
	s_mov_b64 exec, s[20:21]                                   // 000000004D9C: BEFE0114
	buffer_store_dword v72, v6, s[8:11], 0 offen               // 000000004DA0: E0701000 80024806
	s_mov_b64 exec, s[36:37]                                   // 000000004DA8: BEFE0124
	v_mov_b32_e32 v6, v57                                      // 000000004DAC: 7E0C0339
	s_mov_b64 s[60:61], 0                                      // 000000004DB0: BEBC0180
	v_readlane_b32 s82, v3, 10                                 // 000000004DB4: D2890052 00011503
	s_and_b32 s82, s82, 0xffffff                               // 000000004DBC: 8652FF52 00FFFFFF
	s_cmp_lt_u32 s82, s66                                      // 000000004DC4: BF0A4252
	s_cselect_b32 s20, s36, s60                                // 000000004DC8: 85143C24
	v_readlane_b32 s82, v3, 11                                 // 000000004DCC: D2890052 00011703
	s_and_b32 s82, s82, 0xffffff                               // 000000004DD4: 8652FF52 00FFFFFF
	s_cmp_lt_u32 s82, s66                                      // 000000004DDC: BF0A4252
	s_cselect_b32 s21, s36, s60                                // 000000004DE0: 85153C24
	s_mov_b64 exec, s[20:21]                                   // 000000004DE4: BEFE0114
	buffer_store_dword v73, v6, s[8:11], 0 offen               // 000000004DE8: E0701000 80024906
	s_mov_b64 exec, s[36:37]                                   // 000000004DF0: BEFE0124
	v_mov_b32_e32 v6, v58                                      // 000000004DF4: 7E0C033A
	s_mov_b64 s[60:61], 0                                      // 000000004DF8: BEBC0180
	v_readlane_b32 s82, v3, 12                                 // 000000004DFC: D2890052 00011903
	s_and_b32 s82, s82, 0xffffff                               // 000000004E04: 8652FF52 00FFFFFF
	s_cmp_lt_u32 s82, s66                                      // 000000004E0C: BF0A4252
	s_cselect_b32 s20, s36, s60                                // 000000004E10: 85143C24
	v_readlane_b32 s82, v3, 13                                 // 000000004E14: D2890052 00011B03
	s_and_b32 s82, s82, 0xffffff                               // 000000004E1C: 8652FF52 00FFFFFF
	s_cmp_lt_u32 s82, s66                                      // 000000004E24: BF0A4252
	s_cselect_b32 s21, s36, s60                                // 000000004E28: 85153C24
	s_mov_b64 exec, s[20:21]                                   // 000000004E2C: BEFE0114
	buffer_store_dword v74, v6, s[8:11], 0 offen               // 000000004E30: E0701000 80024A06
	s_mov_b64 exec, s[36:37]                                   // 000000004E38: BEFE0124
	v_mov_b32_e32 v6, v59                                      // 000000004E3C: 7E0C033B
	s_mov_b64 s[60:61], 0                                      // 000000004E40: BEBC0180
	v_readlane_b32 s82, v3, 14                                 // 000000004E44: D2890052 00011D03
	s_and_b32 s82, s82, 0xffffff                               // 000000004E4C: 8652FF52 00FFFFFF
	s_cmp_lt_u32 s82, s66                                      // 000000004E54: BF0A4252
	s_cselect_b32 s20, s36, s60                                // 000000004E58: 85143C24
	v_readlane_b32 s82, v3, 15                                 // 000000004E5C: D2890052 00011F03
	s_and_b32 s82, s82, 0xffffff                               // 000000004E64: 8652FF52 00FFFFFF
	s_cmp_lt_u32 s82, s66                                      // 000000004E6C: BF0A4252
	s_cselect_b32 s21, s36, s60                                // 000000004E70: 85153C24
	s_mov_b64 exec, s[20:21]                                   // 000000004E74: BEFE0114
	buffer_store_dword v75, v6, s[8:11], 0 offen               // 000000004E78: E0701000 80024B06
	s_mov_b64 exec, s[36:37]                                   // 000000004E80: BEFE0124
	v_mov_b32_e32 v6, v60                                      // 000000004E84: 7E0C033C
	s_mov_b64 s[60:61], 0                                      // 000000004E88: BEBC0180
	v_readlane_b32 s82, v3, 16                                 // 000000004E8C: D2890052 00012103
	s_and_b32 s82, s82, 0xffffff                               // 000000004E94: 8652FF52 00FFFFFF
	s_cmp_lt_u32 s82, s66                                      // 000000004E9C: BF0A4252
	s_cselect_b32 s20, s36, s60                                // 000000004EA0: 85143C24
	v_readlane_b32 s82, v3, 17                                 // 000000004EA4: D2890052 00012303
	s_and_b32 s82, s82, 0xffffff                               // 000000004EAC: 8652FF52 00FFFFFF
	s_cmp_lt_u32 s82, s66                                      // 000000004EB4: BF0A4252
	s_cselect_b32 s21, s36, s60                                // 000000004EB8: 85153C24
	s_mov_b64 exec, s[20:21]                                   // 000000004EBC: BEFE0114
	buffer_store_dword v76, v6, s[8:11], 0 offen               // 000000004EC0: E0701000 80024C06
	s_mov_b64 exec, s[36:37]                                   // 000000004EC8: BEFE0124
	v_mov_b32_e32 v6, v61                                      // 000000004ECC: 7E0C033D
	s_mov_b64 s[60:61], 0                                      // 000000004ED0: BEBC0180
	v_readlane_b32 s82, v3, 18                                 // 000000004ED4: D2890052 00012503
	s_and_b32 s82, s82, 0xffffff                               // 000000004EDC: 8652FF52 00FFFFFF
	s_cmp_lt_u32 s82, s66                                      // 000000004EE4: BF0A4252
	s_cselect_b32 s20, s36, s60                                // 000000004EE8: 85143C24
	v_readlane_b32 s82, v3, 19                                 // 000000004EEC: D2890052 00012703
	s_and_b32 s82, s82, 0xffffff                               // 000000004EF4: 8652FF52 00FFFFFF
	s_cmp_lt_u32 s82, s66                                      // 000000004EFC: BF0A4252
	s_cselect_b32 s21, s36, s60                                // 000000004F00: 85153C24
	s_mov_b64 exec, s[20:21]                                   // 000000004F04: BEFE0114
	buffer_store_dword v77, v6, s[8:11], 0 offen               // 000000004F08: E0701000 80024D06
	s_mov_b64 exec, s[36:37]                                   // 000000004F10: BEFE0124
	v_mov_b32_e32 v6, v62                                      // 000000004F14: 7E0C033E
	s_mov_b64 s[60:61], 0                                      // 000000004F18: BEBC0180
	v_readlane_b32 s82, v3, 20                                 // 000000004F1C: D2890052 00012903
	s_and_b32 s82, s82, 0xffffff                               // 000000004F24: 8652FF52 00FFFFFF
	s_cmp_lt_u32 s82, s66                                      // 000000004F2C: BF0A4252
	s_cselect_b32 s20, s36, s60                                // 000000004F30: 85143C24
	v_readlane_b32 s82, v3, 21                                 // 000000004F34: D2890052 00012B03
	s_and_b32 s82, s82, 0xffffff                               // 000000004F3C: 8652FF52 00FFFFFF
	s_cmp_lt_u32 s82, s66                                      // 000000004F44: BF0A4252
	s_cselect_b32 s21, s36, s60                                // 000000004F48: 85153C24
	s_mov_b64 exec, s[20:21]                                   // 000000004F4C: BEFE0114
	buffer_store_dword v78, v6, s[8:11], 0 offen               // 000000004F50: E0701000 80024E06
	s_mov_b64 exec, s[36:37]                                   // 000000004F58: BEFE0124
	v_mov_b32_e32 v6, v63                                      // 000000004F5C: 7E0C033F
	s_mov_b64 s[60:61], 0                                      // 000000004F60: BEBC0180
	v_readlane_b32 s82, v3, 22                                 // 000000004F64: D2890052 00012D03
	s_and_b32 s82, s82, 0xffffff                               // 000000004F6C: 8652FF52 00FFFFFF
	s_cmp_lt_u32 s82, s66                                      // 000000004F74: BF0A4252
	s_cselect_b32 s20, s36, s60                                // 000000004F78: 85143C24
	v_readlane_b32 s82, v3, 23                                 // 000000004F7C: D2890052 00012F03
	s_and_b32 s82, s82, 0xffffff                               // 000000004F84: 8652FF52 00FFFFFF
	s_cmp_lt_u32 s82, s66                                      // 000000004F8C: BF0A4252
	s_cselect_b32 s21, s36, s60                                // 000000004F90: 85153C24
	s_mov_b64 exec, s[20:21]                                   // 000000004F94: BEFE0114
	buffer_store_dword v79, v6, s[8:11], 0 offen               // 000000004F98: E0701000 80024F06
	s_mov_b64 exec, s[36:37]                                   // 000000004FA0: BEFE0124
	s_branch label_1A5B                                        // 000000004FA4: BF8210EE

0000000000004fa8 <label_096A>:
	ds_write_b64 v20, v[68:69]                                 // 000000004FA8: D89A0000 00004414
	ds_write_b64 v20, v[72:73] offset:2176                     // 000000004FB0: D89A0880 00004814
	ds_write_b64 v20, v[76:77] offset:4352                     // 000000004FB8: D89A1100 00004C14
	ds_write_b64 v20, v[80:81] offset:6528                     // 000000004FC0: D89A1980 00005014
	ds_write_b64 v20, v[84:85] offset:8704                     // 000000004FC8: D89A2200 00005414
	ds_write_b64 v20, v[88:89] offset:10880                    // 000000004FD0: D89A2A80 00005814
	v_lshrrev_b32_e32 v4, 5, v0                                // 000000004FD8: 20080085
	v_xor_b32_e32 v5, 1, v4                                    // 000000004FDC: 2A0A0881
	s_mul_i32 s60, s65, 2                                      // 000000004FE0: 923C8241
	s_cmp_eq_u32 s88, 0                                        // 000000004FE4: BF068058
	s_cselect_b32 s61, 1, 4                                    // 000000004FE8: 853D8481
	s_mul_i32 s60, s61, s60                                    // 000000004FEC: 923C3C3D
	v_readlane_b32 s82, v3, 0                                  // 000000004FF0: D2890052 00010103
	s_lshr_b32 s61, s82, 24                                    // 000000004FF8: 8F3D9852
	s_and_b32 s82, s82, 0xffffff                               // 000000004FFC: 8652FF52 00FFFFFF
	s_mul_i32 s82, s82, s71                                    // 000000005004: 92524752
	s_mul_i32 s61, s60, s61                                    // 000000005008: 923D3D3C
	s_add_u32 s82, s82, s61                                    // 00000000500C: 80523D52
	v_mul_lo_u32 v6, v5, s82                                   // 000000005010: D2850006 0000A505
	v_readlane_b32 s82, v3, 1                                  // 000000005018: D2890052 00010303
	s_lshr_b32 s61, s82, 24                                    // 000000005020: 8F3D9852
	s_and_b32 s82, s82, 0xffffff                               // 000000005024: 8652FF52 00FFFFFF
	s_mul_i32 s82, s82, s71                                    // 00000000502C: 92524752
	s_mul_i32 s61, s60, s61                                    // 000000005030: 923D3D3C
	s_add_u32 s82, s82, s61                                    // 000000005034: 80523D52
	v_mul_lo_u32 v7, v4, s82                                   // 000000005038: D2850007 0000A504
	v_add_u32_e32 v52, v6, v7                                  // 000000005040: 68680F06
	v_readlane_b32 s82, v3, 2                                  // 000000005044: D2890052 00010503
	s_lshr_b32 s61, s82, 24                                    // 00000000504C: 8F3D9852
	s_and_b32 s82, s82, 0xffffff                               // 000000005050: 8652FF52 00FFFFFF
	s_mul_i32 s82, s82, s71                                    // 000000005058: 92524752
	s_mul_i32 s61, s60, s61                                    // 00000000505C: 923D3D3C
	s_add_u32 s82, s82, s61                                    // 000000005060: 80523D52
	v_mul_lo_u32 v6, v5, s82                                   // 000000005064: D2850006 0000A505
	v_readlane_b32 s82, v3, 3                                  // 00000000506C: D2890052 00010703
	s_lshr_b32 s61, s82, 24                                    // 000000005074: 8F3D9852
	s_and_b32 s82, s82, 0xffffff                               // 000000005078: 8652FF52 00FFFFFF
	s_mul_i32 s82, s82, s71                                    // 000000005080: 92524752
	s_mul_i32 s61, s60, s61                                    // 000000005084: 923D3D3C
	s_add_u32 s82, s82, s61                                    // 000000005088: 80523D52
	v_mul_lo_u32 v7, v4, s82                                   // 00000000508C: D2850007 0000A504
	v_add_u32_e32 v53, v6, v7                                  // 000000005094: 686A0F06
	v_readlane_b32 s82, v3, 4                                  // 000000005098: D2890052 00010903
	s_lshr_b32 s61, s82, 24                                    // 0000000050A0: 8F3D9852
	s_and_b32 s82, s82, 0xffffff                               // 0000000050A4: 8652FF52 00FFFFFF
	s_mul_i32 s82, s82, s71                                    // 0000000050AC: 92524752
	s_mul_i32 s61, s60, s61                                    // 0000000050B0: 923D3D3C
	s_add_u32 s82, s82, s61                                    // 0000000050B4: 80523D52
	v_mul_lo_u32 v6, v5, s82                                   // 0000000050B8: D2850006 0000A505
	v_readlane_b32 s82, v3, 5                                  // 0000000050C0: D2890052 00010B03
	s_lshr_b32 s61, s82, 24                                    // 0000000050C8: 8F3D9852
	s_and_b32 s82, s82, 0xffffff                               // 0000000050CC: 8652FF52 00FFFFFF
	s_mul_i32 s82, s82, s71                                    // 0000000050D4: 92524752
	s_mul_i32 s61, s60, s61                                    // 0000000050D8: 923D3D3C
	s_add_u32 s82, s82, s61                                    // 0000000050DC: 80523D52
	v_mul_lo_u32 v7, v4, s82                                   // 0000000050E0: D2850007 0000A504
	v_add_u32_e32 v54, v6, v7                                  // 0000000050E8: 686C0F06
	v_readlane_b32 s82, v3, 6                                  // 0000000050EC: D2890052 00010D03
	s_lshr_b32 s61, s82, 24                                    // 0000000050F4: 8F3D9852
	s_and_b32 s82, s82, 0xffffff                               // 0000000050F8: 8652FF52 00FFFFFF
	s_mul_i32 s82, s82, s71                                    // 000000005100: 92524752
	s_mul_i32 s61, s60, s61                                    // 000000005104: 923D3D3C
	s_add_u32 s82, s82, s61                                    // 000000005108: 80523D52
	v_mul_lo_u32 v6, v5, s82                                   // 00000000510C: D2850006 0000A505
	v_readlane_b32 s82, v3, 7                                  // 000000005114: D2890052 00010F03
	s_lshr_b32 s61, s82, 24                                    // 00000000511C: 8F3D9852
	s_and_b32 s82, s82, 0xffffff                               // 000000005120: 8652FF52 00FFFFFF
	s_mul_i32 s82, s82, s71                                    // 000000005128: 92524752
	s_mul_i32 s61, s60, s61                                    // 00000000512C: 923D3D3C
	s_add_u32 s82, s82, s61                                    // 000000005130: 80523D52
	v_mul_lo_u32 v7, v4, s82                                   // 000000005134: D2850007 0000A504
	v_add_u32_e32 v55, v6, v7                                  // 00000000513C: 686E0F06
	v_readlane_b32 s82, v3, 8                                  // 000000005140: D2890052 00011103
	s_lshr_b32 s61, s82, 24                                    // 000000005148: 8F3D9852
	s_and_b32 s82, s82, 0xffffff                               // 00000000514C: 8652FF52 00FFFFFF
	s_mul_i32 s82, s82, s71                                    // 000000005154: 92524752
	s_mul_i32 s61, s60, s61                                    // 000000005158: 923D3D3C
	s_add_u32 s82, s82, s61                                    // 00000000515C: 80523D52
	v_mul_lo_u32 v6, v5, s82                                   // 000000005160: D2850006 0000A505
	v_readlane_b32 s82, v3, 9                                  // 000000005168: D2890052 00011303
	s_lshr_b32 s61, s82, 24                                    // 000000005170: 8F3D9852
	s_and_b32 s82, s82, 0xffffff                               // 000000005174: 8652FF52 00FFFFFF
	s_mul_i32 s82, s82, s71                                    // 00000000517C: 92524752
	s_mul_i32 s61, s60, s61                                    // 000000005180: 923D3D3C
	s_add_u32 s82, s82, s61                                    // 000000005184: 80523D52
	v_mul_lo_u32 v7, v4, s82                                   // 000000005188: D2850007 0000A504
	v_add_u32_e32 v56, v6, v7                                  // 000000005190: 68700F06
	v_readlane_b32 s82, v3, 10                                 // 000000005194: D2890052 00011503
	s_lshr_b32 s61, s82, 24                                    // 00000000519C: 8F3D9852
	s_and_b32 s82, s82, 0xffffff                               // 0000000051A0: 8652FF52 00FFFFFF
	s_mul_i32 s82, s82, s71                                    // 0000000051A8: 92524752
	s_mul_i32 s61, s60, s61                                    // 0000000051AC: 923D3D3C
	s_add_u32 s82, s82, s61                                    // 0000000051B0: 80523D52
	v_mul_lo_u32 v6, v5, s82                                   // 0000000051B4: D2850006 0000A505
	v_readlane_b32 s82, v3, 11                                 // 0000000051BC: D2890052 00011703
	s_lshr_b32 s61, s82, 24                                    // 0000000051C4: 8F3D9852
	s_and_b32 s82, s82, 0xffffff                               // 0000000051C8: 8652FF52 00FFFFFF
	s_mul_i32 s82, s82, s71                                    // 0000000051D0: 92524752
	s_mul_i32 s61, s60, s61                                    // 0000000051D4: 923D3D3C
	s_add_u32 s82, s82, s61                                    // 0000000051D8: 80523D52
	v_mul_lo_u32 v7, v4, s82                                   // 0000000051DC: D2850007 0000A504
	v_add_u32_e32 v57, v6, v7                                  // 0000000051E4: 68720F06
	v_readlane_b32 s82, v3, 12                                 // 0000000051E8: D2890052 00011903
	s_lshr_b32 s61, s82, 24                                    // 0000000051F0: 8F3D9852
	s_and_b32 s82, s82, 0xffffff                               // 0000000051F4: 8652FF52 00FFFFFF
	s_mul_i32 s82, s82, s71                                    // 0000000051FC: 92524752
	s_mul_i32 s61, s60, s61                                    // 000000005200: 923D3D3C
	s_add_u32 s82, s82, s61                                    // 000000005204: 80523D52
	v_mul_lo_u32 v6, v5, s82                                   // 000000005208: D2850006 0000A505
	v_readlane_b32 s82, v3, 13                                 // 000000005210: D2890052 00011B03
	s_lshr_b32 s61, s82, 24                                    // 000000005218: 8F3D9852
	s_and_b32 s82, s82, 0xffffff                               // 00000000521C: 8652FF52 00FFFFFF
	s_mul_i32 s82, s82, s71                                    // 000000005224: 92524752
	s_mul_i32 s61, s60, s61                                    // 000000005228: 923D3D3C
	s_add_u32 s82, s82, s61                                    // 00000000522C: 80523D52
	v_mul_lo_u32 v7, v4, s82                                   // 000000005230: D2850007 0000A504
	v_add_u32_e32 v58, v6, v7                                  // 000000005238: 68740F06
	v_readlane_b32 s82, v3, 14                                 // 00000000523C: D2890052 00011D03
	s_lshr_b32 s61, s82, 24                                    // 000000005244: 8F3D9852
	s_and_b32 s82, s82, 0xffffff                               // 000000005248: 8652FF52 00FFFFFF
	s_mul_i32 s82, s82, s71                                    // 000000005250: 92524752
	s_mul_i32 s61, s60, s61                                    // 000000005254: 923D3D3C
	s_add_u32 s82, s82, s61                                    // 000000005258: 80523D52
	v_mul_lo_u32 v6, v5, s82                                   // 00000000525C: D2850006 0000A505
	v_readlane_b32 s82, v3, 15                                 // 000000005264: D2890052 00011F03
	s_lshr_b32 s61, s82, 24                                    // 00000000526C: 8F3D9852
	s_and_b32 s82, s82, 0xffffff                               // 000000005270: 8652FF52 00FFFFFF
	s_mul_i32 s82, s82, s71                                    // 000000005278: 92524752
	s_mul_i32 s61, s60, s61                                    // 00000000527C: 923D3D3C
	s_add_u32 s82, s82, s61                                    // 000000005280: 80523D52
	v_mul_lo_u32 v7, v4, s82                                   // 000000005284: D2850007 0000A504
	v_add_u32_e32 v59, v6, v7                                  // 00000000528C: 68760F06
	v_readlane_b32 s82, v3, 16                                 // 000000005290: D2890052 00012103
	s_lshr_b32 s61, s82, 24                                    // 000000005298: 8F3D9852
	s_and_b32 s82, s82, 0xffffff                               // 00000000529C: 8652FF52 00FFFFFF
	s_mul_i32 s82, s82, s71                                    // 0000000052A4: 92524752
	s_mul_i32 s61, s60, s61                                    // 0000000052A8: 923D3D3C
	s_add_u32 s82, s82, s61                                    // 0000000052AC: 80523D52
	v_mul_lo_u32 v6, v5, s82                                   // 0000000052B0: D2850006 0000A505
	v_readlane_b32 s82, v3, 17                                 // 0000000052B8: D2890052 00012303
	s_lshr_b32 s61, s82, 24                                    // 0000000052C0: 8F3D9852
	s_and_b32 s82, s82, 0xffffff                               // 0000000052C4: 8652FF52 00FFFFFF
	s_mul_i32 s82, s82, s71                                    // 0000000052CC: 92524752
	s_mul_i32 s61, s60, s61                                    // 0000000052D0: 923D3D3C
	s_add_u32 s82, s82, s61                                    // 0000000052D4: 80523D52
	v_mul_lo_u32 v7, v4, s82                                   // 0000000052D8: D2850007 0000A504
	v_add_u32_e32 v60, v6, v7                                  // 0000000052E0: 68780F06
	v_readlane_b32 s82, v3, 18                                 // 0000000052E4: D2890052 00012503
	s_lshr_b32 s61, s82, 24                                    // 0000000052EC: 8F3D9852
	s_and_b32 s82, s82, 0xffffff                               // 0000000052F0: 8652FF52 00FFFFFF
	s_mul_i32 s82, s82, s71                                    // 0000000052F8: 92524752
	s_mul_i32 s61, s60, s61                                    // 0000000052FC: 923D3D3C
	s_add_u32 s82, s82, s61                                    // 000000005300: 80523D52
	v_mul_lo_u32 v6, v5, s82                                   // 000000005304: D2850006 0000A505
	v_readlane_b32 s82, v3, 19                                 // 00000000530C: D2890052 00012703
	s_lshr_b32 s61, s82, 24                                    // 000000005314: 8F3D9852
	s_and_b32 s82, s82, 0xffffff                               // 000000005318: 8652FF52 00FFFFFF
	s_mul_i32 s82, s82, s71                                    // 000000005320: 92524752
	s_mul_i32 s61, s60, s61                                    // 000000005324: 923D3D3C
	s_add_u32 s82, s82, s61                                    // 000000005328: 80523D52
	v_mul_lo_u32 v7, v4, s82                                   // 00000000532C: D2850007 0000A504
	v_add_u32_e32 v61, v6, v7                                  // 000000005334: 687A0F06
	v_readlane_b32 s82, v3, 20                                 // 000000005338: D2890052 00012903
	s_lshr_b32 s61, s82, 24                                    // 000000005340: 8F3D9852
	s_and_b32 s82, s82, 0xffffff                               // 000000005344: 8652FF52 00FFFFFF
	s_mul_i32 s82, s82, s71                                    // 00000000534C: 92524752
	s_mul_i32 s61, s60, s61                                    // 000000005350: 923D3D3C
	s_add_u32 s82, s82, s61                                    // 000000005354: 80523D52
	v_mul_lo_u32 v6, v5, s82                                   // 000000005358: D2850006 0000A505
	v_readlane_b32 s82, v3, 21                                 // 000000005360: D2890052 00012B03
	s_lshr_b32 s61, s82, 24                                    // 000000005368: 8F3D9852
	s_and_b32 s82, s82, 0xffffff                               // 00000000536C: 8652FF52 00FFFFFF
	s_mul_i32 s82, s82, s71                                    // 000000005374: 92524752
	s_mul_i32 s61, s60, s61                                    // 000000005378: 923D3D3C
	s_add_u32 s82, s82, s61                                    // 00000000537C: 80523D52
	v_mul_lo_u32 v7, v4, s82                                   // 000000005380: D2850007 0000A504
	v_add_u32_e32 v62, v6, v7                                  // 000000005388: 687C0F06
	v_readlane_b32 s82, v3, 22                                 // 00000000538C: D2890052 00012D03
	s_lshr_b32 s61, s82, 24                                    // 000000005394: 8F3D9852
	s_and_b32 s82, s82, 0xffffff                               // 000000005398: 8652FF52 00FFFFFF
	s_mul_i32 s82, s82, s71                                    // 0000000053A0: 92524752
	s_mul_i32 s61, s60, s61                                    // 0000000053A4: 923D3D3C
	s_add_u32 s82, s82, s61                                    // 0000000053A8: 80523D52
	v_mul_lo_u32 v6, v5, s82                                   // 0000000053AC: D2850006 0000A505
	v_readlane_b32 s82, v3, 23                                 // 0000000053B4: D2890052 00012F03
	s_lshr_b32 s61, s82, 24                                    // 0000000053BC: 8F3D9852
	s_and_b32 s82, s82, 0xffffff                               // 0000000053C0: 8652FF52 00FFFFFF
	s_mul_i32 s82, s82, s71                                    // 0000000053C8: 92524752
	s_mul_i32 s61, s60, s61                                    // 0000000053CC: 923D3D3C
	s_add_u32 s82, s82, s61                                    // 0000000053D0: 80523D52
	v_mul_lo_u32 v7, v4, s82                                   // 0000000053D4: D2850007 0000A504
	v_add_u32_e32 v63, v6, v7                                  // 0000000053DC: 687E0F06
	v_and_b32_e32 v4, 31, v0                                   // 0000000053E0: 2608009F
	v_lshrrev_b32_e32 v4, 1, v4                                // 0000000053E4: 20080881
	s_cmp_eq_u32 s88, 0                                        // 0000000053E8: BF068058
	s_cselect_b32 s61, 2, 4                                    // 0000000053EC: 853D8482
	v_mul_lo_u32 v4, v4, s61                                   // 0000000053F0: D2850004 00007B04
	v_and_b32_e64 v5, v0, 1                                    // 0000000053F8: D1130005 00010300
	v_add_u32_e32 v4, v4, v5                                   // 000000005400: 68080B04
	v_lshlrev_b32_e32 v4, 2, v4                                // 000000005404: 24080882
	v_add_u32_e32 v52, v52, v4                                 // 000000005408: 68680934
	v_add_u32_e32 v53, v53, v4                                 // 00000000540C: 686A0935
	v_add_u32_e32 v54, v54, v4                                 // 000000005410: 686C0936
	v_add_u32_e32 v55, v55, v4                                 // 000000005414: 686E0937
	v_add_u32_e32 v56, v56, v4                                 // 000000005418: 68700938
	v_add_u32_e32 v57, v57, v4                                 // 00000000541C: 68720939
	v_add_u32_e32 v58, v58, v4                                 // 000000005420: 6874093A
	v_add_u32_e32 v59, v59, v4                                 // 000000005424: 6876093B
	v_add_u32_e32 v60, v60, v4                                 // 000000005428: 6878093C
	v_add_u32_e32 v61, v61, v4                                 // 00000000542C: 687A093D
	v_add_u32_e32 v62, v62, v4                                 // 000000005430: 687C093E
	v_add_u32_e32 v63, v63, v4                                 // 000000005434: 687E093F
	s_waitcnt lgkmcnt(0)                                       // 000000005438: BF8CC07F
	s_barrier                                                  // 00000000543C: BF8A0000
	ds_read_b32 v68, v21                                       // 000000005440: D86C0000 44000015
	ds_read_b32 v69, v21 offset:64                             // 000000005448: D86C0040 45000015
	ds_read_b32 v72, v21 offset:2176                           // 000000005450: D86C0880 48000015
	ds_read_b32 v73, v21 offset:2240                           // 000000005458: D86C08C0 49000015
	ds_read_b32 v76, v21 offset:4352                           // 000000005460: D86C1100 4C000015
	ds_read_b32 v77, v21 offset:4416                           // 000000005468: D86C1140 4D000015
	ds_read_b32 v80, v21 offset:6528                           // 000000005470: D86C1980 50000015
	ds_read_b32 v81, v21 offset:6592                           // 000000005478: D86C19C0 51000015
	ds_read_b32 v84, v21 offset:8704                           // 000000005480: D86C2200 54000015
	ds_read_b32 v85, v21 offset:8768                           // 000000005488: D86C2240 55000015
	ds_read_b32 v88, v21 offset:10880                          // 000000005490: D86C2A80 58000015
	ds_read_b32 v89, v21 offset:10944                          // 000000005498: D86C2AC0 59000015
	s_waitcnt lgkmcnt(0)                                       // 0000000054A0: BF8CC07F
	s_mov_b32 s36, -1                                          // 0000000054A4: BEA400C1
	s_mov_b32 s37, -1                                          // 0000000054A8: BEA500C1
	v_mov_b32_e32 v7, 0                                        // 0000000054AC: 7E0E0280
	s_mov_b64 exec, s[36:37]                                   // 0000000054B0: BEFE0124
	v_mov_b32_e32 v6, v52                                      // 0000000054B4: 7E0C0334
	s_mov_b64 s[60:61], 0                                      // 0000000054B8: BEBC0180
	v_readlane_b32 s82, v3, 0                                  // 0000000054BC: D2890052 00010103
	s_and_b32 s82, s82, 0xffffff                               // 0000000054C4: 8652FF52 00FFFFFF
	s_cmp_lt_u32 s82, s66                                      // 0000000054CC: BF0A4252
	s_cselect_b32 s20, s36, s60                                // 0000000054D0: 85143C24
	v_readlane_b32 s82, v3, 1                                  // 0000000054D4: D2890052 00010303
	s_and_b32 s82, s82, 0xffffff                               // 0000000054DC: 8652FF52 00FFFFFF
	s_cmp_lt_u32 s82, s66                                      // 0000000054E4: BF0A4252
	s_cselect_b32 s21, s36, s60                                // 0000000054E8: 85153C24
	s_mov_b64 exec, s[20:21]                                   // 0000000054EC: BEFE0114
	global_atomic_add_f32 v6, v68, s[8:9]                      // 0000000054F0: DD348000 00084406
	s_mov_b64 exec, s[36:37]                                   // 0000000054F8: BEFE0124
	v_mov_b32_e32 v6, v53                                      // 0000000054FC: 7E0C0335
	s_mov_b64 s[60:61], 0                                      // 000000005500: BEBC0180
	v_readlane_b32 s82, v3, 2                                  // 000000005504: D2890052 00010503
	s_and_b32 s82, s82, 0xffffff                               // 00000000550C: 8652FF52 00FFFFFF
	s_cmp_lt_u32 s82, s66                                      // 000000005514: BF0A4252
	s_cselect_b32 s20, s36, s60                                // 000000005518: 85143C24
	v_readlane_b32 s82, v3, 3                                  // 00000000551C: D2890052 00010703
	s_and_b32 s82, s82, 0xffffff                               // 000000005524: 8652FF52 00FFFFFF
	s_cmp_lt_u32 s82, s66                                      // 00000000552C: BF0A4252
	s_cselect_b32 s21, s36, s60                                // 000000005530: 85153C24
	s_mov_b64 exec, s[20:21]                                   // 000000005534: BEFE0114
	global_atomic_add_f32 v6, v69, s[8:9]                      // 000000005538: DD348000 00084506
	s_mov_b64 exec, s[36:37]                                   // 000000005540: BEFE0124
	v_mov_b32_e32 v6, v54                                      // 000000005544: 7E0C0336
	s_mov_b64 s[60:61], 0                                      // 000000005548: BEBC0180
	v_readlane_b32 s82, v3, 4                                  // 00000000554C: D2890052 00010903
	s_and_b32 s82, s82, 0xffffff                               // 000000005554: 8652FF52 00FFFFFF
	s_cmp_lt_u32 s82, s66                                      // 00000000555C: BF0A4252
	s_cselect_b32 s20, s36, s60                                // 000000005560: 85143C24
	v_readlane_b32 s82, v3, 5                                  // 000000005564: D2890052 00010B03
	s_and_b32 s82, s82, 0xffffff                               // 00000000556C: 8652FF52 00FFFFFF
	s_cmp_lt_u32 s82, s66                                      // 000000005574: BF0A4252
	s_cselect_b32 s21, s36, s60                                // 000000005578: 85153C24
	s_mov_b64 exec, s[20:21]                                   // 00000000557C: BEFE0114
	global_atomic_add_f32 v6, v72, s[8:9]                      // 000000005580: DD348000 00084806
	s_mov_b64 exec, s[36:37]                                   // 000000005588: BEFE0124
	v_mov_b32_e32 v6, v55                                      // 00000000558C: 7E0C0337
	s_mov_b64 s[60:61], 0                                      // 000000005590: BEBC0180
	v_readlane_b32 s82, v3, 6                                  // 000000005594: D2890052 00010D03
	s_and_b32 s82, s82, 0xffffff                               // 00000000559C: 8652FF52 00FFFFFF
	s_cmp_lt_u32 s82, s66                                      // 0000000055A4: BF0A4252
	s_cselect_b32 s20, s36, s60                                // 0000000055A8: 85143C24
	v_readlane_b32 s82, v3, 7                                  // 0000000055AC: D2890052 00010F03
	s_and_b32 s82, s82, 0xffffff                               // 0000000055B4: 8652FF52 00FFFFFF
	s_cmp_lt_u32 s82, s66                                      // 0000000055BC: BF0A4252
	s_cselect_b32 s21, s36, s60                                // 0000000055C0: 85153C24
	s_mov_b64 exec, s[20:21]                                   // 0000000055C4: BEFE0114
	global_atomic_add_f32 v6, v73, s[8:9]                      // 0000000055C8: DD348000 00084906
	s_mov_b64 exec, s[36:37]                                   // 0000000055D0: BEFE0124
	v_mov_b32_e32 v6, v56                                      // 0000000055D4: 7E0C0338
	s_mov_b64 s[60:61], 0                                      // 0000000055D8: BEBC0180
	v_readlane_b32 s82, v3, 8                                  // 0000000055DC: D2890052 00011103
	s_and_b32 s82, s82, 0xffffff                               // 0000000055E4: 8652FF52 00FFFFFF
	s_cmp_lt_u32 s82, s66                                      // 0000000055EC: BF0A4252
	s_cselect_b32 s20, s36, s60                                // 0000000055F0: 85143C24
	v_readlane_b32 s82, v3, 9                                  // 0000000055F4: D2890052 00011303
	s_and_b32 s82, s82, 0xffffff                               // 0000000055FC: 8652FF52 00FFFFFF
	s_cmp_lt_u32 s82, s66                                      // 000000005604: BF0A4252
	s_cselect_b32 s21, s36, s60                                // 000000005608: 85153C24
	s_mov_b64 exec, s[20:21]                                   // 00000000560C: BEFE0114
	global_atomic_add_f32 v6, v76, s[8:9]                      // 000000005610: DD348000 00084C06
	s_mov_b64 exec, s[36:37]                                   // 000000005618: BEFE0124
	v_mov_b32_e32 v6, v57                                      // 00000000561C: 7E0C0339
	s_mov_b64 s[60:61], 0                                      // 000000005620: BEBC0180
	v_readlane_b32 s82, v3, 10                                 // 000000005624: D2890052 00011503
	s_and_b32 s82, s82, 0xffffff                               // 00000000562C: 8652FF52 00FFFFFF
	s_cmp_lt_u32 s82, s66                                      // 000000005634: BF0A4252
	s_cselect_b32 s20, s36, s60                                // 000000005638: 85143C24
	v_readlane_b32 s82, v3, 11                                 // 00000000563C: D2890052 00011703
	s_and_b32 s82, s82, 0xffffff                               // 000000005644: 8652FF52 00FFFFFF
	s_cmp_lt_u32 s82, s66                                      // 00000000564C: BF0A4252
	s_cselect_b32 s21, s36, s60                                // 000000005650: 85153C24
	s_mov_b64 exec, s[20:21]                                   // 000000005654: BEFE0114
	global_atomic_add_f32 v6, v77, s[8:9]                      // 000000005658: DD348000 00084D06
	s_mov_b64 exec, s[36:37]                                   // 000000005660: BEFE0124
	v_mov_b32_e32 v6, v58                                      // 000000005664: 7E0C033A
	s_mov_b64 s[60:61], 0                                      // 000000005668: BEBC0180
	v_readlane_b32 s82, v3, 12                                 // 00000000566C: D2890052 00011903
	s_and_b32 s82, s82, 0xffffff                               // 000000005674: 8652FF52 00FFFFFF
	s_cmp_lt_u32 s82, s66                                      // 00000000567C: BF0A4252
	s_cselect_b32 s20, s36, s60                                // 000000005680: 85143C24
	v_readlane_b32 s82, v3, 13                                 // 000000005684: D2890052 00011B03
	s_and_b32 s82, s82, 0xffffff                               // 00000000568C: 8652FF52 00FFFFFF
	s_cmp_lt_u32 s82, s66                                      // 000000005694: BF0A4252
	s_cselect_b32 s21, s36, s60                                // 000000005698: 85153C24
	s_mov_b64 exec, s[20:21]                                   // 00000000569C: BEFE0114
	global_atomic_add_f32 v6, v80, s[8:9]                      // 0000000056A0: DD348000 00085006
	s_mov_b64 exec, s[36:37]                                   // 0000000056A8: BEFE0124
	v_mov_b32_e32 v6, v59                                      // 0000000056AC: 7E0C033B
	s_mov_b64 s[60:61], 0                                      // 0000000056B0: BEBC0180
	v_readlane_b32 s82, v3, 14                                 // 0000000056B4: D2890052 00011D03
	s_and_b32 s82, s82, 0xffffff                               // 0000000056BC: 8652FF52 00FFFFFF
	s_cmp_lt_u32 s82, s66                                      // 0000000056C4: BF0A4252
	s_cselect_b32 s20, s36, s60                                // 0000000056C8: 85143C24
	v_readlane_b32 s82, v3, 15                                 // 0000000056CC: D2890052 00011F03
	s_and_b32 s82, s82, 0xffffff                               // 0000000056D4: 8652FF52 00FFFFFF
	s_cmp_lt_u32 s82, s66                                      // 0000000056DC: BF0A4252
	s_cselect_b32 s21, s36, s60                                // 0000000056E0: 85153C24
	s_mov_b64 exec, s[20:21]                                   // 0000000056E4: BEFE0114
	global_atomic_add_f32 v6, v81, s[8:9]                      // 0000000056E8: DD348000 00085106
	s_mov_b64 exec, s[36:37]                                   // 0000000056F0: BEFE0124
	v_mov_b32_e32 v6, v60                                      // 0000000056F4: 7E0C033C
	s_mov_b64 s[60:61], 0                                      // 0000000056F8: BEBC0180
	v_readlane_b32 s82, v3, 16                                 // 0000000056FC: D2890052 00012103
	s_and_b32 s82, s82, 0xffffff                               // 000000005704: 8652FF52 00FFFFFF
	s_cmp_lt_u32 s82, s66                                      // 00000000570C: BF0A4252
	s_cselect_b32 s20, s36, s60                                // 000000005710: 85143C24
	v_readlane_b32 s82, v3, 17                                 // 000000005714: D2890052 00012303
	s_and_b32 s82, s82, 0xffffff                               // 00000000571C: 8652FF52 00FFFFFF
	s_cmp_lt_u32 s82, s66                                      // 000000005724: BF0A4252
	s_cselect_b32 s21, s36, s60                                // 000000005728: 85153C24
	s_mov_b64 exec, s[20:21]                                   // 00000000572C: BEFE0114
	global_atomic_add_f32 v6, v84, s[8:9]                      // 000000005730: DD348000 00085406
	s_mov_b64 exec, s[36:37]                                   // 000000005738: BEFE0124
	v_mov_b32_e32 v6, v61                                      // 00000000573C: 7E0C033D
	s_mov_b64 s[60:61], 0                                      // 000000005740: BEBC0180
	v_readlane_b32 s82, v3, 18                                 // 000000005744: D2890052 00012503
	s_and_b32 s82, s82, 0xffffff                               // 00000000574C: 8652FF52 00FFFFFF
	s_cmp_lt_u32 s82, s66                                      // 000000005754: BF0A4252
	s_cselect_b32 s20, s36, s60                                // 000000005758: 85143C24
	v_readlane_b32 s82, v3, 19                                 // 00000000575C: D2890052 00012703
	s_and_b32 s82, s82, 0xffffff                               // 000000005764: 8652FF52 00FFFFFF
	s_cmp_lt_u32 s82, s66                                      // 00000000576C: BF0A4252
	s_cselect_b32 s21, s36, s60                                // 000000005770: 85153C24
	s_mov_b64 exec, s[20:21]                                   // 000000005774: BEFE0114
	global_atomic_add_f32 v6, v85, s[8:9]                      // 000000005778: DD348000 00085506
	s_mov_b64 exec, s[36:37]                                   // 000000005780: BEFE0124
	v_mov_b32_e32 v6, v62                                      // 000000005784: 7E0C033E
	s_mov_b64 s[60:61], 0                                      // 000000005788: BEBC0180
	v_readlane_b32 s82, v3, 20                                 // 00000000578C: D2890052 00012903
	s_and_b32 s82, s82, 0xffffff                               // 000000005794: 8652FF52 00FFFFFF
	s_cmp_lt_u32 s82, s66                                      // 00000000579C: BF0A4252
	s_cselect_b32 s20, s36, s60                                // 0000000057A0: 85143C24
	v_readlane_b32 s82, v3, 21                                 // 0000000057A4: D2890052 00012B03
	s_and_b32 s82, s82, 0xffffff                               // 0000000057AC: 8652FF52 00FFFFFF
	s_cmp_lt_u32 s82, s66                                      // 0000000057B4: BF0A4252
	s_cselect_b32 s21, s36, s60                                // 0000000057B8: 85153C24
	s_mov_b64 exec, s[20:21]                                   // 0000000057BC: BEFE0114
	global_atomic_add_f32 v6, v88, s[8:9]                      // 0000000057C0: DD348000 00085806
	s_mov_b64 exec, s[36:37]                                   // 0000000057C8: BEFE0124
	v_mov_b32_e32 v6, v63                                      // 0000000057CC: 7E0C033F
	s_mov_b64 s[60:61], 0                                      // 0000000057D0: BEBC0180
	v_readlane_b32 s82, v3, 22                                 // 0000000057D4: D2890052 00012D03
	s_and_b32 s82, s82, 0xffffff                               // 0000000057DC: 8652FF52 00FFFFFF
	s_cmp_lt_u32 s82, s66                                      // 0000000057E4: BF0A4252
	s_cselect_b32 s20, s36, s60                                // 0000000057E8: 85143C24
	v_readlane_b32 s82, v3, 23                                 // 0000000057EC: D2890052 00012F03
	s_and_b32 s82, s82, 0xffffff                               // 0000000057F4: 8652FF52 00FFFFFF
	s_cmp_lt_u32 s82, s66                                      // 0000000057FC: BF0A4252
	s_cselect_b32 s21, s36, s60                                // 000000005800: 85153C24
	s_mov_b64 exec, s[20:21]                                   // 000000005804: BEFE0114
	global_atomic_add_f32 v6, v89, s[8:9]                      // 000000005808: DD348000 00085906
	s_mov_b64 exec, s[36:37]                                   // 000000005810: BEFE0124
	ds_write_b64 v20, v[70:71]                                 // 000000005814: D89A0000 00004614
	ds_write_b64 v20, v[74:75] offset:2176                     // 00000000581C: D89A0880 00004A14
	ds_write_b64 v20, v[78:79] offset:4352                     // 000000005824: D89A1100 00004E14
	ds_write_b64 v20, v[82:83] offset:6528                     // 00000000582C: D89A1980 00005214
	ds_write_b64 v20, v[86:87] offset:8704                     // 000000005834: D89A2200 00005614
	ds_write_b64 v20, v[90:91] offset:10880                    // 00000000583C: D89A2A80 00005A14
	s_waitcnt lgkmcnt(0)                                       // 000000005844: BF8CC07F
	s_barrier                                                  // 000000005848: BF8A0000
	ds_read_b32 v70, v21                                       // 00000000584C: D86C0000 46000015
	ds_read_b32 v71, v21 offset:64                             // 000000005854: D86C0040 47000015
	ds_read_b32 v74, v21 offset:2176                           // 00000000585C: D86C0880 4A000015
	ds_read_b32 v75, v21 offset:2240                           // 000000005864: D86C08C0 4B000015
	ds_read_b32 v78, v21 offset:4352                           // 00000000586C: D86C1100 4E000015
	ds_read_b32 v79, v21 offset:4416                           // 000000005874: D86C1140 4F000015
	ds_read_b32 v82, v21 offset:6528                           // 00000000587C: D86C1980 52000015
	ds_read_b32 v83, v21 offset:6592                           // 000000005884: D86C19C0 53000015
	ds_read_b32 v86, v21 offset:8704                           // 00000000588C: D86C2200 56000015
	ds_read_b32 v87, v21 offset:8768                           // 000000005894: D86C2240 57000015
	ds_read_b32 v90, v21 offset:10880                          // 00000000589C: D86C2A80 5A000015
	ds_read_b32 v91, v21 offset:10944                          // 0000000058A4: D86C2AC0 5B000015
	s_waitcnt lgkmcnt(0)                                       // 0000000058AC: BF8CC07F
	v_mov_b32_e32 v7, 0                                        // 0000000058B0: 7E0E0280
	s_mov_b64 exec, s[36:37]                                   // 0000000058B4: BEFE0124
	v_mov_b32_e32 v6, v52                                      // 0000000058B8: 7E0C0334
	s_mov_b64 s[60:61], 0                                      // 0000000058BC: BEBC0180
	v_readlane_b32 s82, v3, 0                                  // 0000000058C0: D2890052 00010103
	s_and_b32 s82, s82, 0xffffff                               // 0000000058C8: 8652FF52 00FFFFFF
	s_cmp_lt_u32 s82, s66                                      // 0000000058D0: BF0A4252
	s_cselect_b32 s20, s36, s60                                // 0000000058D4: 85143C24
	v_readlane_b32 s82, v3, 1                                  // 0000000058D8: D2890052 00010303
	s_and_b32 s82, s82, 0xffffff                               // 0000000058E0: 8652FF52 00FFFFFF
	s_cmp_lt_u32 s82, s66                                      // 0000000058E8: BF0A4252
	s_cselect_b32 s21, s36, s60                                // 0000000058EC: 85153C24
	s_mov_b64 exec, s[20:21]                                   // 0000000058F0: BEFE0114
	global_atomic_add_f32 v6, v70, s[8:9] offset:8             // 0000000058F4: DD348008 00084606
	s_mov_b64 exec, s[36:37]                                   // 0000000058FC: BEFE0124
	v_mov_b32_e32 v6, v53                                      // 000000005900: 7E0C0335
	s_mov_b64 s[60:61], 0                                      // 000000005904: BEBC0180
	v_readlane_b32 s82, v3, 2                                  // 000000005908: D2890052 00010503
	s_and_b32 s82, s82, 0xffffff                               // 000000005910: 8652FF52 00FFFFFF
	s_cmp_lt_u32 s82, s66                                      // 000000005918: BF0A4252
	s_cselect_b32 s20, s36, s60                                // 00000000591C: 85143C24
	v_readlane_b32 s82, v3, 3                                  // 000000005920: D2890052 00010703
	s_and_b32 s82, s82, 0xffffff                               // 000000005928: 8652FF52 00FFFFFF
	s_cmp_lt_u32 s82, s66                                      // 000000005930: BF0A4252
	s_cselect_b32 s21, s36, s60                                // 000000005934: 85153C24
	s_mov_b64 exec, s[20:21]                                   // 000000005938: BEFE0114
	global_atomic_add_f32 v6, v71, s[8:9] offset:8             // 00000000593C: DD348008 00084706
	s_mov_b64 exec, s[36:37]                                   // 000000005944: BEFE0124
	v_mov_b32_e32 v6, v54                                      // 000000005948: 7E0C0336
	s_mov_b64 s[60:61], 0                                      // 00000000594C: BEBC0180
	v_readlane_b32 s82, v3, 4                                  // 000000005950: D2890052 00010903
	s_and_b32 s82, s82, 0xffffff                               // 000000005958: 8652FF52 00FFFFFF
	s_cmp_lt_u32 s82, s66                                      // 000000005960: BF0A4252
	s_cselect_b32 s20, s36, s60                                // 000000005964: 85143C24
	v_readlane_b32 s82, v3, 5                                  // 000000005968: D2890052 00010B03
	s_and_b32 s82, s82, 0xffffff                               // 000000005970: 8652FF52 00FFFFFF
	s_cmp_lt_u32 s82, s66                                      // 000000005978: BF0A4252
	s_cselect_b32 s21, s36, s60                                // 00000000597C: 85153C24
	s_mov_b64 exec, s[20:21]                                   // 000000005980: BEFE0114
	global_atomic_add_f32 v6, v74, s[8:9] offset:8             // 000000005984: DD348008 00084A06
	s_mov_b64 exec, s[36:37]                                   // 00000000598C: BEFE0124
	v_mov_b32_e32 v6, v55                                      // 000000005990: 7E0C0337
	s_mov_b64 s[60:61], 0                                      // 000000005994: BEBC0180
	v_readlane_b32 s82, v3, 6                                  // 000000005998: D2890052 00010D03
	s_and_b32 s82, s82, 0xffffff                               // 0000000059A0: 8652FF52 00FFFFFF
	s_cmp_lt_u32 s82, s66                                      // 0000000059A8: BF0A4252
	s_cselect_b32 s20, s36, s60                                // 0000000059AC: 85143C24
	v_readlane_b32 s82, v3, 7                                  // 0000000059B0: D2890052 00010F03
	s_and_b32 s82, s82, 0xffffff                               // 0000000059B8: 8652FF52 00FFFFFF
	s_cmp_lt_u32 s82, s66                                      // 0000000059C0: BF0A4252
	s_cselect_b32 s21, s36, s60                                // 0000000059C4: 85153C24
	s_mov_b64 exec, s[20:21]                                   // 0000000059C8: BEFE0114
	global_atomic_add_f32 v6, v75, s[8:9] offset:8             // 0000000059CC: DD348008 00084B06
	s_mov_b64 exec, s[36:37]                                   // 0000000059D4: BEFE0124
	v_mov_b32_e32 v6, v56                                      // 0000000059D8: 7E0C0338
	s_mov_b64 s[60:61], 0                                      // 0000000059DC: BEBC0180
	v_readlane_b32 s82, v3, 8                                  // 0000000059E0: D2890052 00011103
	s_and_b32 s82, s82, 0xffffff                               // 0000000059E8: 8652FF52 00FFFFFF
	s_cmp_lt_u32 s82, s66                                      // 0000000059F0: BF0A4252
	s_cselect_b32 s20, s36, s60                                // 0000000059F4: 85143C24
	v_readlane_b32 s82, v3, 9                                  // 0000000059F8: D2890052 00011303
	s_and_b32 s82, s82, 0xffffff                               // 000000005A00: 8652FF52 00FFFFFF
	s_cmp_lt_u32 s82, s66                                      // 000000005A08: BF0A4252
	s_cselect_b32 s21, s36, s60                                // 000000005A0C: 85153C24
	s_mov_b64 exec, s[20:21]                                   // 000000005A10: BEFE0114
	global_atomic_add_f32 v6, v78, s[8:9] offset:8             // 000000005A14: DD348008 00084E06
	s_mov_b64 exec, s[36:37]                                   // 000000005A1C: BEFE0124
	v_mov_b32_e32 v6, v57                                      // 000000005A20: 7E0C0339
	s_mov_b64 s[60:61], 0                                      // 000000005A24: BEBC0180
	v_readlane_b32 s82, v3, 10                                 // 000000005A28: D2890052 00011503
	s_and_b32 s82, s82, 0xffffff                               // 000000005A30: 8652FF52 00FFFFFF
	s_cmp_lt_u32 s82, s66                                      // 000000005A38: BF0A4252
	s_cselect_b32 s20, s36, s60                                // 000000005A3C: 85143C24
	v_readlane_b32 s82, v3, 11                                 // 000000005A40: D2890052 00011703
	s_and_b32 s82, s82, 0xffffff                               // 000000005A48: 8652FF52 00FFFFFF
	s_cmp_lt_u32 s82, s66                                      // 000000005A50: BF0A4252
	s_cselect_b32 s21, s36, s60                                // 000000005A54: 85153C24
	s_mov_b64 exec, s[20:21]                                   // 000000005A58: BEFE0114
	global_atomic_add_f32 v6, v79, s[8:9] offset:8             // 000000005A5C: DD348008 00084F06
	s_mov_b64 exec, s[36:37]                                   // 000000005A64: BEFE0124
	v_mov_b32_e32 v6, v58                                      // 000000005A68: 7E0C033A
	s_mov_b64 s[60:61], 0                                      // 000000005A6C: BEBC0180
	v_readlane_b32 s82, v3, 12                                 // 000000005A70: D2890052 00011903
	s_and_b32 s82, s82, 0xffffff                               // 000000005A78: 8652FF52 00FFFFFF
	s_cmp_lt_u32 s82, s66                                      // 000000005A80: BF0A4252
	s_cselect_b32 s20, s36, s60                                // 000000005A84: 85143C24
	v_readlane_b32 s82, v3, 13                                 // 000000005A88: D2890052 00011B03
	s_and_b32 s82, s82, 0xffffff                               // 000000005A90: 8652FF52 00FFFFFF
	s_cmp_lt_u32 s82, s66                                      // 000000005A98: BF0A4252
	s_cselect_b32 s21, s36, s60                                // 000000005A9C: 85153C24
	s_mov_b64 exec, s[20:21]                                   // 000000005AA0: BEFE0114
	global_atomic_add_f32 v6, v82, s[8:9] offset:8             // 000000005AA4: DD348008 00085206
	s_mov_b64 exec, s[36:37]                                   // 000000005AAC: BEFE0124
	v_mov_b32_e32 v6, v59                                      // 000000005AB0: 7E0C033B
	s_mov_b64 s[60:61], 0                                      // 000000005AB4: BEBC0180
	v_readlane_b32 s82, v3, 14                                 // 000000005AB8: D2890052 00011D03
	s_and_b32 s82, s82, 0xffffff                               // 000000005AC0: 8652FF52 00FFFFFF
	s_cmp_lt_u32 s82, s66                                      // 000000005AC8: BF0A4252
	s_cselect_b32 s20, s36, s60                                // 000000005ACC: 85143C24
	v_readlane_b32 s82, v3, 15                                 // 000000005AD0: D2890052 00011F03
	s_and_b32 s82, s82, 0xffffff                               // 000000005AD8: 8652FF52 00FFFFFF
	s_cmp_lt_u32 s82, s66                                      // 000000005AE0: BF0A4252
	s_cselect_b32 s21, s36, s60                                // 000000005AE4: 85153C24
	s_mov_b64 exec, s[20:21]                                   // 000000005AE8: BEFE0114
	global_atomic_add_f32 v6, v83, s[8:9] offset:8             // 000000005AEC: DD348008 00085306
	s_mov_b64 exec, s[36:37]                                   // 000000005AF4: BEFE0124
	v_mov_b32_e32 v6, v60                                      // 000000005AF8: 7E0C033C
	s_mov_b64 s[60:61], 0                                      // 000000005AFC: BEBC0180
	v_readlane_b32 s82, v3, 16                                 // 000000005B00: D2890052 00012103
	s_and_b32 s82, s82, 0xffffff                               // 000000005B08: 8652FF52 00FFFFFF
	s_cmp_lt_u32 s82, s66                                      // 000000005B10: BF0A4252
	s_cselect_b32 s20, s36, s60                                // 000000005B14: 85143C24
	v_readlane_b32 s82, v3, 17                                 // 000000005B18: D2890052 00012303
	s_and_b32 s82, s82, 0xffffff                               // 000000005B20: 8652FF52 00FFFFFF
	s_cmp_lt_u32 s82, s66                                      // 000000005B28: BF0A4252
	s_cselect_b32 s21, s36, s60                                // 000000005B2C: 85153C24
	s_mov_b64 exec, s[20:21]                                   // 000000005B30: BEFE0114
	global_atomic_add_f32 v6, v86, s[8:9] offset:8             // 000000005B34: DD348008 00085606
	s_mov_b64 exec, s[36:37]                                   // 000000005B3C: BEFE0124
	v_mov_b32_e32 v6, v61                                      // 000000005B40: 7E0C033D
	s_mov_b64 s[60:61], 0                                      // 000000005B44: BEBC0180
	v_readlane_b32 s82, v3, 18                                 // 000000005B48: D2890052 00012503
	s_and_b32 s82, s82, 0xffffff                               // 000000005B50: 8652FF52 00FFFFFF
	s_cmp_lt_u32 s82, s66                                      // 000000005B58: BF0A4252
	s_cselect_b32 s20, s36, s60                                // 000000005B5C: 85143C24
	v_readlane_b32 s82, v3, 19                                 // 000000005B60: D2890052 00012703
	s_and_b32 s82, s82, 0xffffff                               // 000000005B68: 8652FF52 00FFFFFF
	s_cmp_lt_u32 s82, s66                                      // 000000005B70: BF0A4252
	s_cselect_b32 s21, s36, s60                                // 000000005B74: 85153C24
	s_mov_b64 exec, s[20:21]                                   // 000000005B78: BEFE0114
	global_atomic_add_f32 v6, v87, s[8:9] offset:8             // 000000005B7C: DD348008 00085706
	s_mov_b64 exec, s[36:37]                                   // 000000005B84: BEFE0124
	v_mov_b32_e32 v6, v62                                      // 000000005B88: 7E0C033E
	s_mov_b64 s[60:61], 0                                      // 000000005B8C: BEBC0180
	v_readlane_b32 s82, v3, 20                                 // 000000005B90: D2890052 00012903
	s_and_b32 s82, s82, 0xffffff                               // 000000005B98: 8652FF52 00FFFFFF
	s_cmp_lt_u32 s82, s66                                      // 000000005BA0: BF0A4252
	s_cselect_b32 s20, s36, s60                                // 000000005BA4: 85143C24
	v_readlane_b32 s82, v3, 21                                 // 000000005BA8: D2890052 00012B03
	s_and_b32 s82, s82, 0xffffff                               // 000000005BB0: 8652FF52 00FFFFFF
	s_cmp_lt_u32 s82, s66                                      // 000000005BB8: BF0A4252
	s_cselect_b32 s21, s36, s60                                // 000000005BBC: 85153C24
	s_mov_b64 exec, s[20:21]                                   // 000000005BC0: BEFE0114
	global_atomic_add_f32 v6, v90, s[8:9] offset:8             // 000000005BC4: DD348008 00085A06
	s_mov_b64 exec, s[36:37]                                   // 000000005BCC: BEFE0124
	v_mov_b32_e32 v6, v63                                      // 000000005BD0: 7E0C033F
	s_mov_b64 s[60:61], 0                                      // 000000005BD4: BEBC0180
	v_readlane_b32 s82, v3, 22                                 // 000000005BD8: D2890052 00012D03
	s_and_b32 s82, s82, 0xffffff                               // 000000005BE0: 8652FF52 00FFFFFF
	s_cmp_lt_u32 s82, s66                                      // 000000005BE8: BF0A4252
	s_cselect_b32 s20, s36, s60                                // 000000005BEC: 85143C24
	v_readlane_b32 s82, v3, 23                                 // 000000005BF0: D2890052 00012F03
	s_and_b32 s82, s82, 0xffffff                               // 000000005BF8: 8652FF52 00FFFFFF
	s_cmp_lt_u32 s82, s66                                      // 000000005C00: BF0A4252
	s_cselect_b32 s21, s36, s60                                // 000000005C04: 85153C24
	s_mov_b64 exec, s[20:21]                                   // 000000005C08: BEFE0114
	global_atomic_add_f32 v6, v91, s[8:9] offset:8             // 000000005C0C: DD348008 00085B06
	s_mov_b64 exec, s[36:37]                                   // 000000005C14: BEFE0124
	ds_write_b64 v20, v[92:93]                                 // 000000005C18: D89A0000 00005C14
	ds_write_b64 v20, v[96:97] offset:2176                     // 000000005C20: D89A0880 00006014
	ds_write_b64 v20, v[100:101] offset:4352                   // 000000005C28: D89A1100 00006414
	ds_write_b64 v20, v[104:105] offset:6528                   // 000000005C30: D89A1980 00006814
	ds_write_b64 v20, v[108:109] offset:8704                   // 000000005C38: D89A2200 00006C14
	ds_write_b64 v20, v[112:113] offset:10880                  // 000000005C40: D89A2A80 00007014
	s_waitcnt lgkmcnt(0)                                       // 000000005C48: BF8CC07F
	s_barrier                                                  // 000000005C4C: BF8A0000
	ds_read_b32 v92, v21                                       // 000000005C50: D86C0000 5C000015
	ds_read_b32 v93, v21 offset:64                             // 000000005C58: D86C0040 5D000015
	ds_read_b32 v96, v21 offset:2176                           // 000000005C60: D86C0880 60000015
	ds_read_b32 v97, v21 offset:2240                           // 000000005C68: D86C08C0 61000015
	ds_read_b32 v100, v21 offset:4352                          // 000000005C70: D86C1100 64000015
	ds_read_b32 v101, v21 offset:4416                          // 000000005C78: D86C1140 65000015
	ds_read_b32 v104, v21 offset:6528                          // 000000005C80: D86C1980 68000015
	ds_read_b32 v105, v21 offset:6592                          // 000000005C88: D86C19C0 69000015
	ds_read_b32 v108, v21 offset:8704                          // 000000005C90: D86C2200 6C000015
	ds_read_b32 v109, v21 offset:8768                          // 000000005C98: D86C2240 6D000015
	ds_read_b32 v112, v21 offset:10880                         // 000000005CA0: D86C2A80 70000015
	ds_read_b32 v113, v21 offset:10944                         // 000000005CA8: D86C2AC0 71000015
	s_mul_i32 s60, s65, 4                                      // 000000005CB0: 923C8441
	s_add_u32 s8, s60, s8                                      // 000000005CB4: 8008083C
	s_addc_u32 s9, 0, s9                                       // 000000005CB8: 82090980
	s_waitcnt lgkmcnt(0)                                       // 000000005CBC: BF8CC07F
	v_mov_b32_e32 v7, 0                                        // 000000005CC0: 7E0E0280
	s_mov_b64 exec, s[36:37]                                   // 000000005CC4: BEFE0124
	v_mov_b32_e32 v6, v52                                      // 000000005CC8: 7E0C0334
	s_mov_b64 s[60:61], 0                                      // 000000005CCC: BEBC0180
	v_readlane_b32 s82, v3, 0                                  // 000000005CD0: D2890052 00010103
	s_and_b32 s82, s82, 0xffffff                               // 000000005CD8: 8652FF52 00FFFFFF
	s_cmp_lt_u32 s82, s66                                      // 000000005CE0: BF0A4252
	s_cselect_b32 s20, s36, s60                                // 000000005CE4: 85143C24
	v_readlane_b32 s82, v3, 1                                  // 000000005CE8: D2890052 00010303
	s_and_b32 s82, s82, 0xffffff                               // 000000005CF0: 8652FF52 00FFFFFF
	s_cmp_lt_u32 s82, s66                                      // 000000005CF8: BF0A4252
	s_cselect_b32 s21, s36, s60                                // 000000005CFC: 85153C24
	s_mov_b64 exec, s[20:21]                                   // 000000005D00: BEFE0114
	global_atomic_add_f32 v6, v92, s[8:9]                      // 000000005D04: DD348000 00085C06
	s_mov_b64 exec, s[36:37]                                   // 000000005D0C: BEFE0124
	v_mov_b32_e32 v6, v53                                      // 000000005D10: 7E0C0335
	s_mov_b64 s[60:61], 0                                      // 000000005D14: BEBC0180
	v_readlane_b32 s82, v3, 2                                  // 000000005D18: D2890052 00010503
	s_and_b32 s82, s82, 0xffffff                               // 000000005D20: 8652FF52 00FFFFFF
	s_cmp_lt_u32 s82, s66                                      // 000000005D28: BF0A4252
	s_cselect_b32 s20, s36, s60                                // 000000005D2C: 85143C24
	v_readlane_b32 s82, v3, 3                                  // 000000005D30: D2890052 00010703
	s_and_b32 s82, s82, 0xffffff                               // 000000005D38: 8652FF52 00FFFFFF
	s_cmp_lt_u32 s82, s66                                      // 000000005D40: BF0A4252
	s_cselect_b32 s21, s36, s60                                // 000000005D44: 85153C24
	s_mov_b64 exec, s[20:21]                                   // 000000005D48: BEFE0114
	global_atomic_add_f32 v6, v93, s[8:9]                      // 000000005D4C: DD348000 00085D06
	s_mov_b64 exec, s[36:37]                                   // 000000005D54: BEFE0124
	v_mov_b32_e32 v6, v54                                      // 000000005D58: 7E0C0336
	s_mov_b64 s[60:61], 0                                      // 000000005D5C: BEBC0180
	v_readlane_b32 s82, v3, 4                                  // 000000005D60: D2890052 00010903
	s_and_b32 s82, s82, 0xffffff                               // 000000005D68: 8652FF52 00FFFFFF
	s_cmp_lt_u32 s82, s66                                      // 000000005D70: BF0A4252
	s_cselect_b32 s20, s36, s60                                // 000000005D74: 85143C24
	v_readlane_b32 s82, v3, 5                                  // 000000005D78: D2890052 00010B03
	s_and_b32 s82, s82, 0xffffff                               // 000000005D80: 8652FF52 00FFFFFF
	s_cmp_lt_u32 s82, s66                                      // 000000005D88: BF0A4252
	s_cselect_b32 s21, s36, s60                                // 000000005D8C: 85153C24
	s_mov_b64 exec, s[20:21]                                   // 000000005D90: BEFE0114
	global_atomic_add_f32 v6, v96, s[8:9]                      // 000000005D94: DD348000 00086006
	s_mov_b64 exec, s[36:37]                                   // 000000005D9C: BEFE0124
	v_mov_b32_e32 v6, v55                                      // 000000005DA0: 7E0C0337
	s_mov_b64 s[60:61], 0                                      // 000000005DA4: BEBC0180
	v_readlane_b32 s82, v3, 6                                  // 000000005DA8: D2890052 00010D03
	s_and_b32 s82, s82, 0xffffff                               // 000000005DB0: 8652FF52 00FFFFFF
	s_cmp_lt_u32 s82, s66                                      // 000000005DB8: BF0A4252
	s_cselect_b32 s20, s36, s60                                // 000000005DBC: 85143C24
	v_readlane_b32 s82, v3, 7                                  // 000000005DC0: D2890052 00010F03
	s_and_b32 s82, s82, 0xffffff                               // 000000005DC8: 8652FF52 00FFFFFF
	s_cmp_lt_u32 s82, s66                                      // 000000005DD0: BF0A4252
	s_cselect_b32 s21, s36, s60                                // 000000005DD4: 85153C24
	s_mov_b64 exec, s[20:21]                                   // 000000005DD8: BEFE0114
	global_atomic_add_f32 v6, v97, s[8:9]                      // 000000005DDC: DD348000 00086106
	s_mov_b64 exec, s[36:37]                                   // 000000005DE4: BEFE0124
	v_mov_b32_e32 v6, v56                                      // 000000005DE8: 7E0C0338
	s_mov_b64 s[60:61], 0                                      // 000000005DEC: BEBC0180
	v_readlane_b32 s82, v3, 8                                  // 000000005DF0: D2890052 00011103
	s_and_b32 s82, s82, 0xffffff                               // 000000005DF8: 8652FF52 00FFFFFF
	s_cmp_lt_u32 s82, s66                                      // 000000005E00: BF0A4252
	s_cselect_b32 s20, s36, s60                                // 000000005E04: 85143C24
	v_readlane_b32 s82, v3, 9                                  // 000000005E08: D2890052 00011303
	s_and_b32 s82, s82, 0xffffff                               // 000000005E10: 8652FF52 00FFFFFF
	s_cmp_lt_u32 s82, s66                                      // 000000005E18: BF0A4252
	s_cselect_b32 s21, s36, s60                                // 000000005E1C: 85153C24
	s_mov_b64 exec, s[20:21]                                   // 000000005E20: BEFE0114
	global_atomic_add_f32 v6, v100, s[8:9]                     // 000000005E24: DD348000 00086406
	s_mov_b64 exec, s[36:37]                                   // 000000005E2C: BEFE0124
	v_mov_b32_e32 v6, v57                                      // 000000005E30: 7E0C0339
	s_mov_b64 s[60:61], 0                                      // 000000005E34: BEBC0180
	v_readlane_b32 s82, v3, 10                                 // 000000005E38: D2890052 00011503
	s_and_b32 s82, s82, 0xffffff                               // 000000005E40: 8652FF52 00FFFFFF
	s_cmp_lt_u32 s82, s66                                      // 000000005E48: BF0A4252
	s_cselect_b32 s20, s36, s60                                // 000000005E4C: 85143C24
	v_readlane_b32 s82, v3, 11                                 // 000000005E50: D2890052 00011703
	s_and_b32 s82, s82, 0xffffff                               // 000000005E58: 8652FF52 00FFFFFF
	s_cmp_lt_u32 s82, s66                                      // 000000005E60: BF0A4252
	s_cselect_b32 s21, s36, s60                                // 000000005E64: 85153C24
	s_mov_b64 exec, s[20:21]                                   // 000000005E68: BEFE0114
	global_atomic_add_f32 v6, v101, s[8:9]                     // 000000005E6C: DD348000 00086506
	s_mov_b64 exec, s[36:37]                                   // 000000005E74: BEFE0124
	v_mov_b32_e32 v6, v58                                      // 000000005E78: 7E0C033A
	s_mov_b64 s[60:61], 0                                      // 000000005E7C: BEBC0180
	v_readlane_b32 s82, v3, 12                                 // 000000005E80: D2890052 00011903
	s_and_b32 s82, s82, 0xffffff                               // 000000005E88: 8652FF52 00FFFFFF
	s_cmp_lt_u32 s82, s66                                      // 000000005E90: BF0A4252
	s_cselect_b32 s20, s36, s60                                // 000000005E94: 85143C24
	v_readlane_b32 s82, v3, 13                                 // 000000005E98: D2890052 00011B03
	s_and_b32 s82, s82, 0xffffff                               // 000000005EA0: 8652FF52 00FFFFFF
	s_cmp_lt_u32 s82, s66                                      // 000000005EA8: BF0A4252
	s_cselect_b32 s21, s36, s60                                // 000000005EAC: 85153C24
	s_mov_b64 exec, s[20:21]                                   // 000000005EB0: BEFE0114
	global_atomic_add_f32 v6, v104, s[8:9]                     // 000000005EB4: DD348000 00086806
	s_mov_b64 exec, s[36:37]                                   // 000000005EBC: BEFE0124
	v_mov_b32_e32 v6, v59                                      // 000000005EC0: 7E0C033B
	s_mov_b64 s[60:61], 0                                      // 000000005EC4: BEBC0180
	v_readlane_b32 s82, v3, 14                                 // 000000005EC8: D2890052 00011D03
	s_and_b32 s82, s82, 0xffffff                               // 000000005ED0: 8652FF52 00FFFFFF
	s_cmp_lt_u32 s82, s66                                      // 000000005ED8: BF0A4252
	s_cselect_b32 s20, s36, s60                                // 000000005EDC: 85143C24
	v_readlane_b32 s82, v3, 15                                 // 000000005EE0: D2890052 00011F03
	s_and_b32 s82, s82, 0xffffff                               // 000000005EE8: 8652FF52 00FFFFFF
	s_cmp_lt_u32 s82, s66                                      // 000000005EF0: BF0A4252
	s_cselect_b32 s21, s36, s60                                // 000000005EF4: 85153C24
	s_mov_b64 exec, s[20:21]                                   // 000000005EF8: BEFE0114
	global_atomic_add_f32 v6, v105, s[8:9]                     // 000000005EFC: DD348000 00086906
	s_mov_b64 exec, s[36:37]                                   // 000000005F04: BEFE0124
	v_mov_b32_e32 v6, v60                                      // 000000005F08: 7E0C033C
	s_mov_b64 s[60:61], 0                                      // 000000005F0C: BEBC0180
	v_readlane_b32 s82, v3, 16                                 // 000000005F10: D2890052 00012103
	s_and_b32 s82, s82, 0xffffff                               // 000000005F18: 8652FF52 00FFFFFF
	s_cmp_lt_u32 s82, s66                                      // 000000005F20: BF0A4252
	s_cselect_b32 s20, s36, s60                                // 000000005F24: 85143C24
	v_readlane_b32 s82, v3, 17                                 // 000000005F28: D2890052 00012303
	s_and_b32 s82, s82, 0xffffff                               // 000000005F30: 8652FF52 00FFFFFF
	s_cmp_lt_u32 s82, s66                                      // 000000005F38: BF0A4252
	s_cselect_b32 s21, s36, s60                                // 000000005F3C: 85153C24
	s_mov_b64 exec, s[20:21]                                   // 000000005F40: BEFE0114
	global_atomic_add_f32 v6, v108, s[8:9]                     // 000000005F44: DD348000 00086C06
	s_mov_b64 exec, s[36:37]                                   // 000000005F4C: BEFE0124
	v_mov_b32_e32 v6, v61                                      // 000000005F50: 7E0C033D
	s_mov_b64 s[60:61], 0                                      // 000000005F54: BEBC0180
	v_readlane_b32 s82, v3, 18                                 // 000000005F58: D2890052 00012503
	s_and_b32 s82, s82, 0xffffff                               // 000000005F60: 8652FF52 00FFFFFF
	s_cmp_lt_u32 s82, s66                                      // 000000005F68: BF0A4252
	s_cselect_b32 s20, s36, s60                                // 000000005F6C: 85143C24
	v_readlane_b32 s82, v3, 19                                 // 000000005F70: D2890052 00012703
	s_and_b32 s82, s82, 0xffffff                               // 000000005F78: 8652FF52 00FFFFFF
	s_cmp_lt_u32 s82, s66                                      // 000000005F80: BF0A4252
	s_cselect_b32 s21, s36, s60                                // 000000005F84: 85153C24
	s_mov_b64 exec, s[20:21]                                   // 000000005F88: BEFE0114
	global_atomic_add_f32 v6, v109, s[8:9]                     // 000000005F8C: DD348000 00086D06
	s_mov_b64 exec, s[36:37]                                   // 000000005F94: BEFE0124
	v_mov_b32_e32 v6, v62                                      // 000000005F98: 7E0C033E
	s_mov_b64 s[60:61], 0                                      // 000000005F9C: BEBC0180
	v_readlane_b32 s82, v3, 20                                 // 000000005FA0: D2890052 00012903
	s_and_b32 s82, s82, 0xffffff                               // 000000005FA8: 8652FF52 00FFFFFF
	s_cmp_lt_u32 s82, s66                                      // 000000005FB0: BF0A4252
	s_cselect_b32 s20, s36, s60                                // 000000005FB4: 85143C24
	v_readlane_b32 s82, v3, 21                                 // 000000005FB8: D2890052 00012B03
	s_and_b32 s82, s82, 0xffffff                               // 000000005FC0: 8652FF52 00FFFFFF
	s_cmp_lt_u32 s82, s66                                      // 000000005FC8: BF0A4252
	s_cselect_b32 s21, s36, s60                                // 000000005FCC: 85153C24
	s_mov_b64 exec, s[20:21]                                   // 000000005FD0: BEFE0114
	global_atomic_add_f32 v6, v112, s[8:9]                     // 000000005FD4: DD348000 00087006
	s_mov_b64 exec, s[36:37]                                   // 000000005FDC: BEFE0124
	v_mov_b32_e32 v6, v63                                      // 000000005FE0: 7E0C033F
	s_mov_b64 s[60:61], 0                                      // 000000005FE4: BEBC0180
	v_readlane_b32 s82, v3, 22                                 // 000000005FE8: D2890052 00012D03
	s_and_b32 s82, s82, 0xffffff                               // 000000005FF0: 8652FF52 00FFFFFF
	s_cmp_lt_u32 s82, s66                                      // 000000005FF8: BF0A4252
	s_cselect_b32 s20, s36, s60                                // 000000005FFC: 85143C24
	v_readlane_b32 s82, v3, 23                                 // 000000006000: D2890052 00012F03
	s_and_b32 s82, s82, 0xffffff                               // 000000006008: 8652FF52 00FFFFFF
	s_cmp_lt_u32 s82, s66                                      // 000000006010: BF0A4252
	s_cselect_b32 s21, s36, s60                                // 000000006014: 85153C24
	s_mov_b64 exec, s[20:21]                                   // 000000006018: BEFE0114
	global_atomic_add_f32 v6, v113, s[8:9]                     // 00000000601C: DD348000 00087106
	s_mov_b64 exec, s[36:37]                                   // 000000006024: BEFE0124
	ds_write_b64 v20, v[94:95]                                 // 000000006028: D89A0000 00005E14
	ds_write_b64 v20, v[98:99] offset:2176                     // 000000006030: D89A0880 00006214
	ds_write_b64 v20, v[102:103] offset:4352                   // 000000006038: D89A1100 00006614
	ds_write_b64 v20, v[106:107] offset:6528                   // 000000006040: D89A1980 00006A14
	ds_write_b64 v20, v[110:111] offset:8704                   // 000000006048: D89A2200 00006E14
	ds_write_b64 v20, v[114:115] offset:10880                  // 000000006050: D89A2A80 00007214
	s_waitcnt lgkmcnt(0)                                       // 000000006058: BF8CC07F
	s_barrier                                                  // 00000000605C: BF8A0000
	ds_read_b32 v94, v21                                       // 000000006060: D86C0000 5E000015
	ds_read_b32 v95, v21 offset:64                             // 000000006068: D86C0040 5F000015
	ds_read_b32 v98, v21 offset:2176                           // 000000006070: D86C0880 62000015
	ds_read_b32 v99, v21 offset:2240                           // 000000006078: D86C08C0 63000015
	ds_read_b32 v102, v21 offset:4352                          // 000000006080: D86C1100 66000015
	ds_read_b32 v103, v21 offset:4416                          // 000000006088: D86C1140 67000015
	ds_read_b32 v106, v21 offset:6528                          // 000000006090: D86C1980 6A000015
	ds_read_b32 v107, v21 offset:6592                          // 000000006098: D86C19C0 6B000015
	ds_read_b32 v110, v21 offset:8704                          // 0000000060A0: D86C2200 6E000015
	ds_read_b32 v111, v21 offset:8768                          // 0000000060A8: D86C2240 6F000015
	ds_read_b32 v114, v21 offset:10880                         // 0000000060B0: D86C2A80 72000015
	ds_read_b32 v115, v21 offset:10944                         // 0000000060B8: D86C2AC0 73000015
	s_waitcnt lgkmcnt(0)                                       // 0000000060C0: BF8CC07F
	v_mov_b32_e32 v7, 0                                        // 0000000060C4: 7E0E0280
	s_mov_b64 exec, s[36:37]                                   // 0000000060C8: BEFE0124
	v_mov_b32_e32 v6, v52                                      // 0000000060CC: 7E0C0334
	s_mov_b64 s[60:61], 0                                      // 0000000060D0: BEBC0180
	v_readlane_b32 s82, v3, 0                                  // 0000000060D4: D2890052 00010103
	s_and_b32 s82, s82, 0xffffff                               // 0000000060DC: 8652FF52 00FFFFFF
	s_cmp_lt_u32 s82, s66                                      // 0000000060E4: BF0A4252
	s_cselect_b32 s20, s36, s60                                // 0000000060E8: 85143C24
	v_readlane_b32 s82, v3, 1                                  // 0000000060EC: D2890052 00010303
	s_and_b32 s82, s82, 0xffffff                               // 0000000060F4: 8652FF52 00FFFFFF
	s_cmp_lt_u32 s82, s66                                      // 0000000060FC: BF0A4252
	s_cselect_b32 s21, s36, s60                                // 000000006100: 85153C24
	s_mov_b64 exec, s[20:21]                                   // 000000006104: BEFE0114
	global_atomic_add_f32 v6, v94, s[8:9] offset:8             // 000000006108: DD348008 00085E06
	s_mov_b64 exec, s[36:37]                                   // 000000006110: BEFE0124
	v_mov_b32_e32 v6, v53                                      // 000000006114: 7E0C0335
	s_mov_b64 s[60:61], 0                                      // 000000006118: BEBC0180
	v_readlane_b32 s82, v3, 2                                  // 00000000611C: D2890052 00010503
	s_and_b32 s82, s82, 0xffffff                               // 000000006124: 8652FF52 00FFFFFF
	s_cmp_lt_u32 s82, s66                                      // 00000000612C: BF0A4252
	s_cselect_b32 s20, s36, s60                                // 000000006130: 85143C24
	v_readlane_b32 s82, v3, 3                                  // 000000006134: D2890052 00010703
	s_and_b32 s82, s82, 0xffffff                               // 00000000613C: 8652FF52 00FFFFFF
	s_cmp_lt_u32 s82, s66                                      // 000000006144: BF0A4252
	s_cselect_b32 s21, s36, s60                                // 000000006148: 85153C24
	s_mov_b64 exec, s[20:21]                                   // 00000000614C: BEFE0114
	global_atomic_add_f32 v6, v95, s[8:9] offset:8             // 000000006150: DD348008 00085F06
	s_mov_b64 exec, s[36:37]                                   // 000000006158: BEFE0124
	v_mov_b32_e32 v6, v54                                      // 00000000615C: 7E0C0336
	s_mov_b64 s[60:61], 0                                      // 000000006160: BEBC0180
	v_readlane_b32 s82, v3, 4                                  // 000000006164: D2890052 00010903
	s_and_b32 s82, s82, 0xffffff                               // 00000000616C: 8652FF52 00FFFFFF
	s_cmp_lt_u32 s82, s66                                      // 000000006174: BF0A4252
	s_cselect_b32 s20, s36, s60                                // 000000006178: 85143C24
	v_readlane_b32 s82, v3, 5                                  // 00000000617C: D2890052 00010B03
	s_and_b32 s82, s82, 0xffffff                               // 000000006184: 8652FF52 00FFFFFF
	s_cmp_lt_u32 s82, s66                                      // 00000000618C: BF0A4252
	s_cselect_b32 s21, s36, s60                                // 000000006190: 85153C24
	s_mov_b64 exec, s[20:21]                                   // 000000006194: BEFE0114
	global_atomic_add_f32 v6, v98, s[8:9] offset:8             // 000000006198: DD348008 00086206
	s_mov_b64 exec, s[36:37]                                   // 0000000061A0: BEFE0124
	v_mov_b32_e32 v6, v55                                      // 0000000061A4: 7E0C0337
	s_mov_b64 s[60:61], 0                                      // 0000000061A8: BEBC0180
	v_readlane_b32 s82, v3, 6                                  // 0000000061AC: D2890052 00010D03
	s_and_b32 s82, s82, 0xffffff                               // 0000000061B4: 8652FF52 00FFFFFF
	s_cmp_lt_u32 s82, s66                                      // 0000000061BC: BF0A4252
	s_cselect_b32 s20, s36, s60                                // 0000000061C0: 85143C24
	v_readlane_b32 s82, v3, 7                                  // 0000000061C4: D2890052 00010F03
	s_and_b32 s82, s82, 0xffffff                               // 0000000061CC: 8652FF52 00FFFFFF
	s_cmp_lt_u32 s82, s66                                      // 0000000061D4: BF0A4252
	s_cselect_b32 s21, s36, s60                                // 0000000061D8: 85153C24
	s_mov_b64 exec, s[20:21]                                   // 0000000061DC: BEFE0114
	global_atomic_add_f32 v6, v99, s[8:9] offset:8             // 0000000061E0: DD348008 00086306
	s_mov_b64 exec, s[36:37]                                   // 0000000061E8: BEFE0124
	v_mov_b32_e32 v6, v56                                      // 0000000061EC: 7E0C0338
	s_mov_b64 s[60:61], 0                                      // 0000000061F0: BEBC0180
	v_readlane_b32 s82, v3, 8                                  // 0000000061F4: D2890052 00011103
	s_and_b32 s82, s82, 0xffffff                               // 0000000061FC: 8652FF52 00FFFFFF
	s_cmp_lt_u32 s82, s66                                      // 000000006204: BF0A4252
	s_cselect_b32 s20, s36, s60                                // 000000006208: 85143C24
	v_readlane_b32 s82, v3, 9                                  // 00000000620C: D2890052 00011303
	s_and_b32 s82, s82, 0xffffff                               // 000000006214: 8652FF52 00FFFFFF
	s_cmp_lt_u32 s82, s66                                      // 00000000621C: BF0A4252
	s_cselect_b32 s21, s36, s60                                // 000000006220: 85153C24
	s_mov_b64 exec, s[20:21]                                   // 000000006224: BEFE0114
	global_atomic_add_f32 v6, v102, s[8:9] offset:8            // 000000006228: DD348008 00086606
	s_mov_b64 exec, s[36:37]                                   // 000000006230: BEFE0124
	v_mov_b32_e32 v6, v57                                      // 000000006234: 7E0C0339
	s_mov_b64 s[60:61], 0                                      // 000000006238: BEBC0180
	v_readlane_b32 s82, v3, 10                                 // 00000000623C: D2890052 00011503
	s_and_b32 s82, s82, 0xffffff                               // 000000006244: 8652FF52 00FFFFFF
	s_cmp_lt_u32 s82, s66                                      // 00000000624C: BF0A4252
	s_cselect_b32 s20, s36, s60                                // 000000006250: 85143C24
	v_readlane_b32 s82, v3, 11                                 // 000000006254: D2890052 00011703
	s_and_b32 s82, s82, 0xffffff                               // 00000000625C: 8652FF52 00FFFFFF
	s_cmp_lt_u32 s82, s66                                      // 000000006264: BF0A4252
	s_cselect_b32 s21, s36, s60                                // 000000006268: 85153C24
	s_mov_b64 exec, s[20:21]                                   // 00000000626C: BEFE0114
	global_atomic_add_f32 v6, v103, s[8:9] offset:8            // 000000006270: DD348008 00086706
	s_mov_b64 exec, s[36:37]                                   // 000000006278: BEFE0124
	v_mov_b32_e32 v6, v58                                      // 00000000627C: 7E0C033A
	s_mov_b64 s[60:61], 0                                      // 000000006280: BEBC0180
	v_readlane_b32 s82, v3, 12                                 // 000000006284: D2890052 00011903
	s_and_b32 s82, s82, 0xffffff                               // 00000000628C: 8652FF52 00FFFFFF
	s_cmp_lt_u32 s82, s66                                      // 000000006294: BF0A4252
	s_cselect_b32 s20, s36, s60                                // 000000006298: 85143C24
	v_readlane_b32 s82, v3, 13                                 // 00000000629C: D2890052 00011B03
	s_and_b32 s82, s82, 0xffffff                               // 0000000062A4: 8652FF52 00FFFFFF
	s_cmp_lt_u32 s82, s66                                      // 0000000062AC: BF0A4252
	s_cselect_b32 s21, s36, s60                                // 0000000062B0: 85153C24
	s_mov_b64 exec, s[20:21]                                   // 0000000062B4: BEFE0114
	global_atomic_add_f32 v6, v106, s[8:9] offset:8            // 0000000062B8: DD348008 00086A06
	s_mov_b64 exec, s[36:37]                                   // 0000000062C0: BEFE0124
	v_mov_b32_e32 v6, v59                                      // 0000000062C4: 7E0C033B
	s_mov_b64 s[60:61], 0                                      // 0000000062C8: BEBC0180
	v_readlane_b32 s82, v3, 14                                 // 0000000062CC: D2890052 00011D03
	s_and_b32 s82, s82, 0xffffff                               // 0000000062D4: 8652FF52 00FFFFFF
	s_cmp_lt_u32 s82, s66                                      // 0000000062DC: BF0A4252
	s_cselect_b32 s20, s36, s60                                // 0000000062E0: 85143C24
	v_readlane_b32 s82, v3, 15                                 // 0000000062E4: D2890052 00011F03
	s_and_b32 s82, s82, 0xffffff                               // 0000000062EC: 8652FF52 00FFFFFF
	s_cmp_lt_u32 s82, s66                                      // 0000000062F4: BF0A4252
	s_cselect_b32 s21, s36, s60                                // 0000000062F8: 85153C24
	s_mov_b64 exec, s[20:21]                                   // 0000000062FC: BEFE0114
	global_atomic_add_f32 v6, v107, s[8:9] offset:8            // 000000006300: DD348008 00086B06
	s_mov_b64 exec, s[36:37]                                   // 000000006308: BEFE0124
	v_mov_b32_e32 v6, v60                                      // 00000000630C: 7E0C033C
	s_mov_b64 s[60:61], 0                                      // 000000006310: BEBC0180
	v_readlane_b32 s82, v3, 16                                 // 000000006314: D2890052 00012103
	s_and_b32 s82, s82, 0xffffff                               // 00000000631C: 8652FF52 00FFFFFF
	s_cmp_lt_u32 s82, s66                                      // 000000006324: BF0A4252
	s_cselect_b32 s20, s36, s60                                // 000000006328: 85143C24
	v_readlane_b32 s82, v3, 17                                 // 00000000632C: D2890052 00012303
	s_and_b32 s82, s82, 0xffffff                               // 000000006334: 8652FF52 00FFFFFF
	s_cmp_lt_u32 s82, s66                                      // 00000000633C: BF0A4252
	s_cselect_b32 s21, s36, s60                                // 000000006340: 85153C24
	s_mov_b64 exec, s[20:21]                                   // 000000006344: BEFE0114
	global_atomic_add_f32 v6, v110, s[8:9] offset:8            // 000000006348: DD348008 00086E06
	s_mov_b64 exec, s[36:37]                                   // 000000006350: BEFE0124
	v_mov_b32_e32 v6, v61                                      // 000000006354: 7E0C033D
	s_mov_b64 s[60:61], 0                                      // 000000006358: BEBC0180
	v_readlane_b32 s82, v3, 18                                 // 00000000635C: D2890052 00012503
	s_and_b32 s82, s82, 0xffffff                               // 000000006364: 8652FF52 00FFFFFF
	s_cmp_lt_u32 s82, s66                                      // 00000000636C: BF0A4252
	s_cselect_b32 s20, s36, s60                                // 000000006370: 85143C24
	v_readlane_b32 s82, v3, 19                                 // 000000006374: D2890052 00012703
	s_and_b32 s82, s82, 0xffffff                               // 00000000637C: 8652FF52 00FFFFFF
	s_cmp_lt_u32 s82, s66                                      // 000000006384: BF0A4252
	s_cselect_b32 s21, s36, s60                                // 000000006388: 85153C24
	s_mov_b64 exec, s[20:21]                                   // 00000000638C: BEFE0114
	global_atomic_add_f32 v6, v111, s[8:9] offset:8            // 000000006390: DD348008 00086F06
	s_mov_b64 exec, s[36:37]                                   // 000000006398: BEFE0124
	v_mov_b32_e32 v6, v62                                      // 00000000639C: 7E0C033E
	s_mov_b64 s[60:61], 0                                      // 0000000063A0: BEBC0180
	v_readlane_b32 s82, v3, 20                                 // 0000000063A4: D2890052 00012903
	s_and_b32 s82, s82, 0xffffff                               // 0000000063AC: 8652FF52 00FFFFFF
	s_cmp_lt_u32 s82, s66                                      // 0000000063B4: BF0A4252
	s_cselect_b32 s20, s36, s60                                // 0000000063B8: 85143C24
	v_readlane_b32 s82, v3, 21                                 // 0000000063BC: D2890052 00012B03
	s_and_b32 s82, s82, 0xffffff                               // 0000000063C4: 8652FF52 00FFFFFF
	s_cmp_lt_u32 s82, s66                                      // 0000000063CC: BF0A4252
	s_cselect_b32 s21, s36, s60                                // 0000000063D0: 85153C24
	s_mov_b64 exec, s[20:21]                                   // 0000000063D4: BEFE0114
	global_atomic_add_f32 v6, v114, s[8:9] offset:8            // 0000000063D8: DD348008 00087206
	s_mov_b64 exec, s[36:37]                                   // 0000000063E0: BEFE0124
	v_mov_b32_e32 v6, v63                                      // 0000000063E4: 7E0C033F
	s_mov_b64 s[60:61], 0                                      // 0000000063E8: BEBC0180
	v_readlane_b32 s82, v3, 22                                 // 0000000063EC: D2890052 00012D03
	s_and_b32 s82, s82, 0xffffff                               // 0000000063F4: 8652FF52 00FFFFFF
	s_cmp_lt_u32 s82, s66                                      // 0000000063FC: BF0A4252
	s_cselect_b32 s20, s36, s60                                // 000000006400: 85143C24
	v_readlane_b32 s82, v3, 23                                 // 000000006404: D2890052 00012F03
	s_and_b32 s82, s82, 0xffffff                               // 00000000640C: 8652FF52 00FFFFFF
	s_cmp_lt_u32 s82, s66                                      // 000000006414: BF0A4252
	s_cselect_b32 s21, s36, s60                                // 000000006418: 85153C24
	s_mov_b64 exec, s[20:21]                                   // 00000000641C: BEFE0114
	global_atomic_add_f32 v6, v115, s[8:9] offset:8            // 000000006420: DD348008 00087306
	s_mov_b64 exec, s[36:37]                                   // 000000006428: BEFE0124
	s_branch label_1A5B                                        // 00000000642C: BF820BCC

0000000000006430 <label_0E8F>:
	s_waitcnt vmcnt(0) lgkmcnt(0)                              // 000000006430: BF8C0070
	s_barrier                                                  // 000000006434: BF8A0000
	v_mfma_f32_16x16x32_fp8_fp8 v[68:71], a[96:97], a[0:1], v[68:71]// 000000006438: D3F30044 1D120160
	buffer_load_dwordx4 a[104:107], v64, s[84:87], 0 offen     // 000000006440: E05C1000 80956840
	v_mfma_f32_16x16x32_fp8_fp8 v[68:71], a[98:99], a[2:3], v[68:71]// 000000006448: D3F30044 1D120562
	v_mfma_f32_16x16x32_fp8_fp8 v[68:71], a[100:101], a[4:5], v[68:71]// 000000006450: D3F30044 1D120964
	v_mfma_f32_16x16x32_fp8_fp8 v[68:71], a[102:103], a[6:7], v[68:71]// 000000006458: D3F30044 1D120D66
	v_mfma_f32_16x16x32_fp8_fp8 v[72:75], a[96:97], a[8:9], v[72:75]// 000000006460: D3F30048 1D221160
	buffer_load_dwordx4 a[108:111], v64, s[84:87], 0 offen offset:1024// 000000006468: E05C1400 80956C40
	buffer_load_dword v52, s[20:23], 0 offen lds               // 000000006470: E0511000 80050034
	s_add_u32 m0, 0x100, s48                                   // 000000006478: 807C30FF 00000100
	v_mfma_f32_16x16x32_fp8_fp8 v[72:75], a[98:99], a[10:11], v[72:75]// 000000006480: D3F30048 1D221562
	v_mfma_f32_16x16x32_fp8_fp8 v[72:75], a[100:101], a[12:13], v[72:75]// 000000006488: D3F30048 1D221964
	buffer_load_dword v53, s[20:23], 0 offen lds               // 000000006490: E0511000 80050035
	s_add_u32 m0, 0x200, s48                                   // 000000006498: 807C30FF 00000200
	v_mfma_f32_16x16x32_fp8_fp8 v[72:75], a[102:103], a[14:15], v[72:75]// 0000000064A0: D3F30048 1D221D66
	v_mfma_f32_16x16x32_fp8_fp8 v[76:79], a[96:97], a[16:17], v[76:79]// 0000000064A8: D3F3004C 1D322160
	buffer_load_dword v54, s[20:23], 0 offen lds               // 0000000064B0: E0511000 80050036
	s_add_u32 m0, 0x300, s48                                   // 0000000064B8: 807C30FF 00000300
	v_mfma_f32_16x16x32_fp8_fp8 v[76:79], a[98:99], a[18:19], v[76:79]// 0000000064C0: D3F3004C 1D322562
	v_mfma_f32_16x16x32_fp8_fp8 v[76:79], a[100:101], a[20:21], v[76:79]// 0000000064C8: D3F3004C 1D322964
	buffer_load_dword v55, s[20:23], 0 offen lds               // 0000000064D0: E0511000 80050037
	s_add_u32 m0, 0x400, s48                                   // 0000000064D8: 807C30FF 00000400
	v_mfma_f32_16x16x32_fp8_fp8 v[76:79], a[102:103], a[22:23], v[76:79]// 0000000064E0: D3F3004C 1D322D66
	v_mfma_f32_16x16x32_fp8_fp8 v[80:83], a[96:97], a[24:25], v[80:83]// 0000000064E8: D3F30050 1D423160
	buffer_load_dword v56, s[20:23], 0 offen lds               // 0000000064F0: E0511000 80050038
	s_add_u32 m0, 0x500, s48                                   // 0000000064F8: 807C30FF 00000500
	v_mfma_f32_16x16x32_fp8_fp8 v[80:83], a[98:99], a[26:27], v[80:83]// 000000006500: D3F30050 1D423562
	v_mfma_f32_16x16x32_fp8_fp8 v[80:83], a[100:101], a[28:29], v[80:83]// 000000006508: D3F30050 1D423964
	buffer_load_dword v57, s[20:23], 0 offen lds               // 000000006510: E0511000 80050039
	s_add_u32 m0, 0x600, s48                                   // 000000006518: 807C30FF 00000600
	v_mfma_f32_16x16x32_fp8_fp8 v[80:83], a[102:103], a[30:31], v[80:83]// 000000006520: D3F30050 1D423D66
	v_mfma_f32_16x16x32_fp8_fp8 v[84:87], a[96:97], a[32:33], v[84:87]// 000000006528: D3F30054 1D524160
	buffer_load_dword v58, s[20:23], 0 offen lds               // 000000006530: E0511000 8005003A
	s_add_u32 m0, 0x700, s48                                   // 000000006538: 807C30FF 00000700
	v_mfma_f32_16x16x32_fp8_fp8 v[84:87], a[98:99], a[34:35], v[84:87]// 000000006540: D3F30054 1D524562
	v_mfma_f32_16x16x32_fp8_fp8 v[84:87], a[100:101], a[36:37], v[84:87]// 000000006548: D3F30054 1D524964
	buffer_load_dword v59, s[20:23], 0 offen lds               // 000000006550: E0511000 8005003B
	s_add_u32 m0, 0x800, s48                                   // 000000006558: 807C30FF 00000800
	v_mfma_f32_16x16x32_fp8_fp8 v[84:87], a[102:103], a[38:39], v[84:87]// 000000006560: D3F30054 1D524D66
	v_mfma_f32_16x16x32_fp8_fp8 v[88:91], a[96:97], a[40:41], v[88:91]// 000000006568: D3F30058 1D625160
	buffer_load_dword v60, s[20:23], 0 offen lds               // 000000006570: E0511000 8005003C
	s_add_u32 m0, 0x900, s48                                   // 000000006578: 807C30FF 00000900
	v_mfma_f32_16x16x32_fp8_fp8 v[88:91], a[98:99], a[42:43], v[88:91]// 000000006580: D3F30058 1D625562
	s_add_u32 s60, 0x80, s80                                   // 000000006588: 803C50FF 00000080
	s_cmp_lt_u32 s60, s81                                      // 000000006590: BF0A513C
	s_cselect_b32 s83, s83, 0                                  // 000000006594: 85538053
	v_mfma_f32_16x16x32_fp8_fp8 v[88:91], a[100:101], a[44:45], v[88:91]// 000000006598: D3F30058 1D625964
	buffer_load_dword v61, s[20:23], 0 offen lds               // 0000000065A0: E0511000 8005003D
	s_add_u32 m0, 0xa00, s48                                   // 0000000065A8: 807C30FF 00000A00
	v_mfma_f32_16x16x32_fp8_fp8 v[88:91], a[102:103], a[46:47], v[88:91]// 0000000065B0: D3F30058 1D625D66
	buffer_load_dword v62, s[20:23], 0 offen lds               // 0000000065B8: E0511000 8005003E
	s_add_u32 m0, 0xb00, s48                                   // 0000000065C0: 807C30FF 00000B00
	buffer_load_dword v63, s[20:23], 0 offen lds               // 0000000065C8: E0511000 8005003F
	s_add_u32 m0, 0, s49                                       // 0000000065D0: 807C3180
	s_waitcnt vmcnt(12)                                        // 0000000065D4: BF8C0F7C
	v_mfma_f32_16x16x32_fp8_fp8 v[92:95], a[104:105], a[0:1], v[92:95]// 0000000065D8: D3F3005C 1D720168
	buffer_load_dwordx4 a[96:99], v64, s[24:27], 0 offen       // 0000000065E0: E05C1000 80866040
	v_mfma_f32_16x16x32_fp8_fp8 v[92:95], a[106:107], a[2:3], v[92:95]// 0000000065E8: D3F3005C 1D72056A
	v_mfma_f32_16x16x32_fp8_fp8 v[92:95], a[108:109], a[4:5], v[92:95]// 0000000065F0: D3F3005C 1D72096C
	ds_read_b128 a[48:51], v2 offset:12416                     // 0000000065F8: DBFE3080 30000002
	ds_read_b128 a[52:55], v2 offset:12480                     // 000000006600: DBFE30C0 34000002
	v_mfma_f32_16x16x32_fp8_fp8 v[92:95], a[110:111], a[6:7], v[92:95]// 000000006608: D3F3005C 1D720D6E
	v_mfma_f32_16x16x32_fp8_fp8 v[96:99], a[104:105], a[8:9], v[96:99]// 000000006610: D3F30060 1D821168
	buffer_load_dwordx4 a[100:103], v64, s[24:27], 0 offen offset:1024// 000000006618: E05C1400 80866440
	v_mfma_f32_16x16x32_fp8_fp8 v[96:99], a[106:107], a[10:11], v[96:99]// 000000006620: D3F30060 1D82156A
	v_mfma_f32_16x16x32_fp8_fp8 v[96:99], a[108:109], a[12:13], v[96:99]// 000000006628: D3F30060 1D82196C
	ds_read_b128 a[56:59], v2 offset:12928                     // 000000006630: DBFE3280 38000002
	ds_read_b128 a[60:63], v2 offset:12992                     // 000000006638: DBFE32C0 3C000002
	v_mfma_f32_16x16x32_fp8_fp8 v[96:99], a[110:111], a[14:15], v[96:99]// 000000006640: D3F30060 1D821D6E
	v_mfma_f32_16x16x32_fp8_fp8 v[100:103], a[104:105], a[16:17], v[100:103]// 000000006648: D3F30064 1D922168
	v_mfma_f32_16x16x32_fp8_fp8 v[100:103], a[106:107], a[18:19], v[100:103]// 000000006650: D3F30064 1D92256A
	v_mfma_f32_16x16x32_fp8_fp8 v[100:103], a[108:109], a[20:21], v[100:103]// 000000006658: D3F30064 1D92296C
	ds_read_b128 a[64:67], v2 offset:13440                     // 000000006660: DBFE3480 40000002
	ds_read_b128 a[68:71], v2 offset:13504                     // 000000006668: DBFE34C0 44000002
	v_mfma_f32_16x16x32_fp8_fp8 v[100:103], a[110:111], a[22:23], v[100:103]// 000000006670: D3F30064 1D922D6E
	v_mfma_f32_16x16x32_fp8_fp8 v[104:107], a[104:105], a[24:25], v[104:107]// 000000006678: D3F30068 1DA23168
	v_mfma_f32_16x16x32_fp8_fp8 v[104:107], a[106:107], a[26:27], v[104:107]// 000000006680: D3F30068 1DA2356A
	v_mfma_f32_16x16x32_fp8_fp8 v[104:107], a[108:109], a[28:29], v[104:107]// 000000006688: D3F30068 1DA2396C
	ds_read_b128 a[72:75], v2 offset:13952                     // 000000006690: DBFE3680 48000002
	ds_read_b128 a[76:79], v2 offset:14016                     // 000000006698: DBFE36C0 4C000002
	v_mfma_f32_16x16x32_fp8_fp8 v[104:107], a[110:111], a[30:31], v[104:107]// 0000000066A0: D3F30068 1DA23D6E
	v_mfma_f32_16x16x32_fp8_fp8 v[108:111], a[104:105], a[32:33], v[108:111]// 0000000066A8: D3F3006C 1DB24168
	v_mfma_f32_16x16x32_fp8_fp8 v[108:111], a[106:107], a[34:35], v[108:111]// 0000000066B0: D3F3006C 1DB2456A
	v_mfma_f32_16x16x32_fp8_fp8 v[108:111], a[108:109], a[36:37], v[108:111]// 0000000066B8: D3F3006C 1DB2496C
	ds_read_b128 a[80:83], v2 offset:14464                     // 0000000066C0: DBFE3880 50000002
	ds_read_b128 a[84:87], v2 offset:14528                     // 0000000066C8: DBFE38C0 54000002
	s_add_u32 s60, 0x180, s80                                  // 0000000066D0: 803C50FF 00000180
	s_cmp_lt_u32 s60, s81                                      // 0000000066D8: BF0A513C
	s_cselect_b32 s57, s57, 0                                  // 0000000066DC: 85398039
	v_mfma_f32_16x16x32_fp8_fp8 v[108:111], a[110:111], a[38:39], v[108:111]// 0000000066E0: D3F3006C 1DB24D6E
	s_add_u32 s60, 0x100, s80                                  // 0000000066E8: 803C50FF 00000100
	s_cmp_lt_u32 s60, s81                                      // 0000000066F0: BF0A513C
	s_cselect_b32 s58, s58, 0                                  // 0000000066F4: 853A803A
	v_mfma_f32_16x16x32_fp8_fp8 v[112:115], a[104:105], a[40:41], v[112:115]// 0000000066F8: D3F30070 1DC25168
	s_add_u32 s24, s58, s24                                    // 000000006700: 8018183A
	s_addc_u32 s25, 0, s25                                     // 000000006704: 82191980
	v_mfma_f32_16x16x32_fp8_fp8 v[112:115], a[106:107], a[42:43], v[112:115]// 000000006708: D3F30070 1DC2556A
	s_add_u32 s20, s57, s20                                    // 000000006710: 80141439
	s_addc_u32 s21, 0, s21                                     // 000000006714: 82151580
	v_mfma_f32_16x16x32_fp8_fp8 v[112:115], a[108:109], a[44:45], v[112:115]// 000000006718: D3F30070 1DC2596C
	ds_read_b128 a[88:91], v2 offset:14976                     // 000000006720: DBFE3A80 58000002
	ds_read_b128 a[92:95], v2 offset:15040                     // 000000006728: DBFE3AC0 5C000002
	s_add_u32 s84, s83, s84                                    // 000000006730: 80545453
	s_addc_u32 s85, 0, s85                                     // 000000006734: 82555580
	v_mfma_f32_16x16x32_fp8_fp8 v[112:115], a[110:111], a[46:47], v[112:115]// 000000006738: D3F30070 1DC25D6E
	s_addk_i32 s80, 0x80                                       // 000000006740: B7500080
	s_cmp_lt_i32 s80, s81                                      // 000000006744: BF045150
	s_cbranch_scc0 label_101E                                  // 000000006748: BF8400C8
	s_waitcnt vmcnt(0) lgkmcnt(0)                              // 00000000674C: BF8C0070
	s_barrier                                                  // 000000006750: BF8A0000
	v_mfma_f32_16x16x32_fp8_fp8 v[68:71], a[96:97], a[48:49], v[68:71]// 000000006754: D3F30044 1D126160
	buffer_load_dwordx4 a[104:107], v64, s[84:87], 0 offen     // 00000000675C: E05C1000 80956840
	v_mfma_f32_16x16x32_fp8_fp8 v[68:71], a[98:99], a[50:51], v[68:71]// 000000006764: D3F30044 1D126562
	v_mfma_f32_16x16x32_fp8_fp8 v[68:71], a[100:101], a[52:53], v[68:71]// 00000000676C: D3F30044 1D126964
	v_mfma_f32_16x16x32_fp8_fp8 v[68:71], a[102:103], a[54:55], v[68:71]// 000000006774: D3F30044 1D126D66
	v_mfma_f32_16x16x32_fp8_fp8 v[72:75], a[96:97], a[56:57], v[72:75]// 00000000677C: D3F30048 1D227160
	buffer_load_dwordx4 a[108:111], v64, s[84:87], 0 offen offset:1024// 000000006784: E05C1400 80956C40
	buffer_load_dword v52, s[20:23], 0 offen lds               // 00000000678C: E0511000 80050034
	s_add_u32 m0, 0x100, s49                                   // 000000006794: 807C31FF 00000100
	v_mfma_f32_16x16x32_fp8_fp8 v[72:75], a[98:99], a[58:59], v[72:75]// 00000000679C: D3F30048 1D227562
	v_mfma_f32_16x16x32_fp8_fp8 v[72:75], a[100:101], a[60:61], v[72:75]// 0000000067A4: D3F30048 1D227964
	buffer_load_dword v53, s[20:23], 0 offen lds               // 0000000067AC: E0511000 80050035
	s_add_u32 m0, 0x200, s49                                   // 0000000067B4: 807C31FF 00000200
	v_mfma_f32_16x16x32_fp8_fp8 v[72:75], a[102:103], a[62:63], v[72:75]// 0000000067BC: D3F30048 1D227D66
	v_mfma_f32_16x16x32_fp8_fp8 v[76:79], a[96:97], a[64:65], v[76:79]// 0000000067C4: D3F3004C 1D328160
	buffer_load_dword v54, s[20:23], 0 offen lds               // 0000000067CC: E0511000 80050036
	s_add_u32 m0, 0x300, s49                                   // 0000000067D4: 807C31FF 00000300
	v_mfma_f32_16x16x32_fp8_fp8 v[76:79], a[98:99], a[66:67], v[76:79]// 0000000067DC: D3F3004C 1D328562
	v_mfma_f32_16x16x32_fp8_fp8 v[76:79], a[100:101], a[68:69], v[76:79]// 0000000067E4: D3F3004C 1D328964
	buffer_load_dword v55, s[20:23], 0 offen lds               // 0000000067EC: E0511000 80050037
	s_add_u32 m0, 0x400, s49                                   // 0000000067F4: 807C31FF 00000400
	v_mfma_f32_16x16x32_fp8_fp8 v[76:79], a[102:103], a[70:71], v[76:79]// 0000000067FC: D3F3004C 1D328D66
	v_mfma_f32_16x16x32_fp8_fp8 v[80:83], a[96:97], a[72:73], v[80:83]// 000000006804: D3F30050 1D429160
	buffer_load_dword v56, s[20:23], 0 offen lds               // 00000000680C: E0511000 80050038
	s_add_u32 m0, 0x500, s49                                   // 000000006814: 807C31FF 00000500
	v_mfma_f32_16x16x32_fp8_fp8 v[80:83], a[98:99], a[74:75], v[80:83]// 00000000681C: D3F30050 1D429562
	v_mfma_f32_16x16x32_fp8_fp8 v[80:83], a[100:101], a[76:77], v[80:83]// 000000006824: D3F30050 1D429964
	buffer_load_dword v57, s[20:23], 0 offen lds               // 00000000682C: E0511000 80050039
	s_add_u32 m0, 0x600, s49                                   // 000000006834: 807C31FF 00000600
	v_mfma_f32_16x16x32_fp8_fp8 v[80:83], a[102:103], a[78:79], v[80:83]// 00000000683C: D3F30050 1D429D66
	v_mfma_f32_16x16x32_fp8_fp8 v[84:87], a[96:97], a[80:81], v[84:87]// 000000006844: D3F30054 1D52A160
	buffer_load_dword v58, s[20:23], 0 offen lds               // 00000000684C: E0511000 8005003A
	s_add_u32 m0, 0x700, s49                                   // 000000006854: 807C31FF 00000700
	v_mfma_f32_16x16x32_fp8_fp8 v[84:87], a[98:99], a[82:83], v[84:87]// 00000000685C: D3F30054 1D52A562
	v_mfma_f32_16x16x32_fp8_fp8 v[84:87], a[100:101], a[84:85], v[84:87]// 000000006864: D3F30054 1D52A964
	buffer_load_dword v59, s[20:23], 0 offen lds               // 00000000686C: E0511000 8005003B
	s_add_u32 m0, 0x800, s49                                   // 000000006874: 807C31FF 00000800
	v_mfma_f32_16x16x32_fp8_fp8 v[84:87], a[102:103], a[86:87], v[84:87]// 00000000687C: D3F30054 1D52AD66
	v_mfma_f32_16x16x32_fp8_fp8 v[88:91], a[96:97], a[88:89], v[88:91]// 000000006884: D3F30058 1D62B160
	buffer_load_dword v60, s[20:23], 0 offen lds               // 00000000688C: E0511000 8005003C
	s_add_u32 m0, 0x900, s49                                   // 000000006894: 807C31FF 00000900
	v_mfma_f32_16x16x32_fp8_fp8 v[88:91], a[98:99], a[90:91], v[88:91]// 00000000689C: D3F30058 1D62B562
	s_add_u32 s60, 0x80, s80                                   // 0000000068A4: 803C50FF 00000080
	s_cmp_lt_u32 s60, s81                                      // 0000000068AC: BF0A513C
	s_cselect_b32 s83, s83, 0                                  // 0000000068B0: 85538053
	v_mfma_f32_16x16x32_fp8_fp8 v[88:91], a[100:101], a[92:93], v[88:91]// 0000000068B4: D3F30058 1D62B964
	buffer_load_dword v61, s[20:23], 0 offen lds               // 0000000068BC: E0511000 8005003D
	s_add_u32 m0, 0xa00, s49                                   // 0000000068C4: 807C31FF 00000A00
	v_mfma_f32_16x16x32_fp8_fp8 v[88:91], a[102:103], a[94:95], v[88:91]// 0000000068CC: D3F30058 1D62BD66
	buffer_load_dword v62, s[20:23], 0 offen lds               // 0000000068D4: E0511000 8005003E
	s_add_u32 m0, 0xb00, s49                                   // 0000000068DC: 807C31FF 00000B00
	buffer_load_dword v63, s[20:23], 0 offen lds               // 0000000068E4: E0511000 8005003F
	s_add_u32 m0, 0, s48                                       // 0000000068EC: 807C3080
	s_waitcnt vmcnt(12)                                        // 0000000068F0: BF8C0F7C
	v_mfma_f32_16x16x32_fp8_fp8 v[92:95], a[104:105], a[48:49], v[92:95]// 0000000068F4: D3F3005C 1D726168
	buffer_load_dwordx4 a[96:99], v64, s[24:27], 0 offen       // 0000000068FC: E05C1000 80866040
	v_mfma_f32_16x16x32_fp8_fp8 v[92:95], a[106:107], a[50:51], v[92:95]// 000000006904: D3F3005C 1D72656A
	v_mfma_f32_16x16x32_fp8_fp8 v[92:95], a[108:109], a[52:53], v[92:95]// 00000000690C: D3F3005C 1D72696C
	ds_read_b128 a[0:3], v2                                    // 000000006914: DBFE0000 00000002
	ds_read_b128 a[4:7], v2 offset:64                          // 00000000691C: DBFE0040 04000002
	v_mfma_f32_16x16x32_fp8_fp8 v[92:95], a[110:111], a[54:55], v[92:95]// 000000006924: D3F3005C 1D726D6E
	v_mfma_f32_16x16x32_fp8_fp8 v[96:99], a[104:105], a[56:57], v[96:99]// 00000000692C: D3F30060 1D827168
	buffer_load_dwordx4 a[100:103], v64, s[24:27], 0 offen offset:1024// 000000006934: E05C1400 80866440
	v_mfma_f32_16x16x32_fp8_fp8 v[96:99], a[106:107], a[58:59], v[96:99]// 00000000693C: D3F30060 1D82756A
	v_mfma_f32_16x16x32_fp8_fp8 v[96:99], a[108:109], a[60:61], v[96:99]// 000000006944: D3F30060 1D82796C
	ds_read_b128 a[8:11], v2 offset:512                        // 00000000694C: DBFE0200 08000002
	ds_read_b128 a[12:15], v2 offset:576                       // 000000006954: DBFE0240 0C000002
	v_mfma_f32_16x16x32_fp8_fp8 v[96:99], a[110:111], a[62:63], v[96:99]// 00000000695C: D3F30060 1D827D6E
	v_mfma_f32_16x16x32_fp8_fp8 v[100:103], a[104:105], a[64:65], v[100:103]// 000000006964: D3F30064 1D928168
	v_mfma_f32_16x16x32_fp8_fp8 v[100:103], a[106:107], a[66:67], v[100:103]// 00000000696C: D3F30064 1D92856A
	v_mfma_f32_16x16x32_fp8_fp8 v[100:103], a[108:109], a[68:69], v[100:103]// 000000006974: D3F30064 1D92896C
	ds_read_b128 a[16:19], v2 offset:1024                      // 00000000697C: DBFE0400 10000002
	ds_read_b128 a[20:23], v2 offset:1088                      // 000000006984: DBFE0440 14000002
	v_mfma_f32_16x16x32_fp8_fp8 v[100:103], a[110:111], a[70:71], v[100:103]// 00000000698C: D3F30064 1D928D6E
	v_mfma_f32_16x16x32_fp8_fp8 v[104:107], a[104:105], a[72:73], v[104:107]// 000000006994: D3F30068 1DA29168
	v_mfma_f32_16x16x32_fp8_fp8 v[104:107], a[106:107], a[74:75], v[104:107]// 00000000699C: D3F30068 1DA2956A
	v_mfma_f32_16x16x32_fp8_fp8 v[104:107], a[108:109], a[76:77], v[104:107]// 0000000069A4: D3F30068 1DA2996C
	ds_read_b128 a[24:27], v2 offset:1536                      // 0000000069AC: DBFE0600 18000002
	ds_read_b128 a[28:31], v2 offset:1600                      // 0000000069B4: DBFE0640 1C000002
	v_mfma_f32_16x16x32_fp8_fp8 v[104:107], a[110:111], a[78:79], v[104:107]// 0000000069BC: D3F30068 1DA29D6E
	v_mfma_f32_16x16x32_fp8_fp8 v[108:111], a[104:105], a[80:81], v[108:111]// 0000000069C4: D3F3006C 1DB2A168
	v_mfma_f32_16x16x32_fp8_fp8 v[108:111], a[106:107], a[82:83], v[108:111]// 0000000069CC: D3F3006C 1DB2A56A
	v_mfma_f32_16x16x32_fp8_fp8 v[108:111], a[108:109], a[84:85], v[108:111]// 0000000069D4: D3F3006C 1DB2A96C
	ds_read_b128 a[32:35], v2 offset:2048                      // 0000000069DC: DBFE0800 20000002
	ds_read_b128 a[36:39], v2 offset:2112                      // 0000000069E4: DBFE0840 24000002
	s_add_u32 s60, 0x180, s80                                  // 0000000069EC: 803C50FF 00000180
	s_cmp_lt_u32 s60, s81                                      // 0000000069F4: BF0A513C
	s_cselect_b32 s57, s57, 0                                  // 0000000069F8: 85398039
	v_mfma_f32_16x16x32_fp8_fp8 v[108:111], a[110:111], a[86:87], v[108:111]// 0000000069FC: D3F3006C 1DB2AD6E
	s_add_u32 s60, 0x100, s80                                  // 000000006A04: 803C50FF 00000100
	s_cmp_lt_u32 s60, s81                                      // 000000006A0C: BF0A513C
	s_cselect_b32 s58, s58, 0                                  // 000000006A10: 853A803A
	v_mfma_f32_16x16x32_fp8_fp8 v[112:115], a[104:105], a[88:89], v[112:115]// 000000006A14: D3F30070 1DC2B168
	s_add_u32 s24, s58, s24                                    // 000000006A1C: 8018183A
	s_addc_u32 s25, 0, s25                                     // 000000006A20: 82191980
	v_mfma_f32_16x16x32_fp8_fp8 v[112:115], a[106:107], a[90:91], v[112:115]// 000000006A24: D3F30070 1DC2B56A
	s_add_u32 s20, s57, s20                                    // 000000006A2C: 80141439
	s_addc_u32 s21, 0, s21                                     // 000000006A30: 82151580
	v_mfma_f32_16x16x32_fp8_fp8 v[112:115], a[108:109], a[92:93], v[112:115]// 000000006A34: D3F30070 1DC2B96C
	ds_read_b128 a[40:43], v2 offset:2560                      // 000000006A3C: DBFE0A00 28000002
	ds_read_b128 a[44:47], v2 offset:2624                      // 000000006A44: DBFE0A40 2C000002
	s_add_u32 s84, s83, s84                                    // 000000006A4C: 80545453
	s_addc_u32 s85, 0, s85                                     // 000000006A50: 82555580
	v_mfma_f32_16x16x32_fp8_fp8 v[112:115], a[110:111], a[94:95], v[112:115]// 000000006A54: D3F30070 1DC2BD6E
	s_addk_i32 s80, 0x80                                       // 000000006A5C: B7500080
	s_cmp_lt_i32 s80, s81                                      // 000000006A60: BF045150
	s_cbranch_scc0 label_101E                                  // 000000006A64: BF840001
	s_branch label_0E8F                                        // 000000006A68: BF82FE71

0000000000006a6c <label_101E>:
	v_mul_f32_dpp v68, v24, v68 row_newbcast:0 row_mask:0xf bank_mask:0xf// 000000006A6C: 0A8888FA FF015018
	v_mul_f32_dpp v69, v24, v69 row_newbcast:1 row_mask:0xf bank_mask:0xf// 000000006A74: 0A8A8AFA FF015118
	v_mul_f32_dpp v70, v24, v70 row_newbcast:2 row_mask:0xf bank_mask:0xf// 000000006A7C: 0A8C8CFA FF015218
	v_mul_f32_dpp v71, v24, v71 row_newbcast:3 row_mask:0xf bank_mask:0xf// 000000006A84: 0A8E8EFA FF015318
	v_mul_f32_dpp v72, v24, v72 row_newbcast:0 row_mask:0xf bank_mask:0xf// 000000006A8C: 0A9090FA FF015018
	v_mul_f32_dpp v73, v24, v73 row_newbcast:1 row_mask:0xf bank_mask:0xf// 000000006A94: 0A9292FA FF015118
	v_mul_f32_dpp v74, v24, v74 row_newbcast:2 row_mask:0xf bank_mask:0xf// 000000006A9C: 0A9494FA FF015218
	v_mul_f32_dpp v75, v24, v75 row_newbcast:3 row_mask:0xf bank_mask:0xf// 000000006AA4: 0A9696FA FF015318
	v_mul_f32_dpp v76, v24, v76 row_newbcast:0 row_mask:0xf bank_mask:0xf// 000000006AAC: 0A9898FA FF015018
	v_mul_f32_dpp v77, v24, v77 row_newbcast:1 row_mask:0xf bank_mask:0xf// 000000006AB4: 0A9A9AFA FF015118
	v_mul_f32_dpp v78, v24, v78 row_newbcast:2 row_mask:0xf bank_mask:0xf// 000000006ABC: 0A9C9CFA FF015218
	v_mul_f32_dpp v79, v24, v79 row_newbcast:3 row_mask:0xf bank_mask:0xf// 000000006AC4: 0A9E9EFA FF015318
	v_mul_f32_dpp v80, v24, v80 row_newbcast:0 row_mask:0xf bank_mask:0xf// 000000006ACC: 0AA0A0FA FF015018
	v_mul_f32_dpp v81, v24, v81 row_newbcast:1 row_mask:0xf bank_mask:0xf// 000000006AD4: 0AA2A2FA FF015118
	v_mul_f32_dpp v82, v24, v82 row_newbcast:2 row_mask:0xf bank_mask:0xf// 000000006ADC: 0AA4A4FA FF015218
	v_mul_f32_dpp v83, v24, v83 row_newbcast:3 row_mask:0xf bank_mask:0xf// 000000006AE4: 0AA6A6FA FF015318
	v_mul_f32_dpp v84, v24, v84 row_newbcast:0 row_mask:0xf bank_mask:0xf// 000000006AEC: 0AA8A8FA FF015018
	v_mul_f32_dpp v85, v24, v85 row_newbcast:1 row_mask:0xf bank_mask:0xf// 000000006AF4: 0AAAAAFA FF015118
	v_mul_f32_dpp v86, v24, v86 row_newbcast:2 row_mask:0xf bank_mask:0xf// 000000006AFC: 0AACACFA FF015218
	v_mul_f32_dpp v87, v24, v87 row_newbcast:3 row_mask:0xf bank_mask:0xf// 000000006B04: 0AAEAEFA FF015318
	v_mul_f32_dpp v88, v24, v88 row_newbcast:0 row_mask:0xf bank_mask:0xf// 000000006B0C: 0AB0B0FA FF015018
	v_mul_f32_dpp v89, v24, v89 row_newbcast:1 row_mask:0xf bank_mask:0xf// 000000006B14: 0AB2B2FA FF015118
	v_mul_f32_dpp v90, v24, v90 row_newbcast:2 row_mask:0xf bank_mask:0xf// 000000006B1C: 0AB4B4FA FF015218
	v_mul_f32_dpp v91, v24, v91 row_newbcast:3 row_mask:0xf bank_mask:0xf// 000000006B24: 0AB6B6FA FF015318
	v_mul_f32_dpp v92, v26, v92 row_newbcast:0 row_mask:0xf bank_mask:0xf// 000000006B2C: 0AB8B8FA FF01501A
	v_mul_f32_dpp v93, v26, v93 row_newbcast:1 row_mask:0xf bank_mask:0xf// 000000006B34: 0ABABAFA FF01511A
	v_mul_f32_dpp v94, v26, v94 row_newbcast:2 row_mask:0xf bank_mask:0xf// 000000006B3C: 0ABCBCFA FF01521A
	v_mul_f32_dpp v95, v26, v95 row_newbcast:3 row_mask:0xf bank_mask:0xf// 000000006B44: 0ABEBEFA FF01531A
	v_mul_f32_dpp v96, v26, v96 row_newbcast:0 row_mask:0xf bank_mask:0xf// 000000006B4C: 0AC0C0FA FF01501A
	v_mul_f32_dpp v97, v26, v97 row_newbcast:1 row_mask:0xf bank_mask:0xf// 000000006B54: 0AC2C2FA FF01511A
	v_mul_f32_dpp v98, v26, v98 row_newbcast:2 row_mask:0xf bank_mask:0xf// 000000006B5C: 0AC4C4FA FF01521A
	v_mul_f32_dpp v99, v26, v99 row_newbcast:3 row_mask:0xf bank_mask:0xf// 000000006B64: 0AC6C6FA FF01531A
	v_mul_f32_dpp v100, v26, v100 row_newbcast:0 row_mask:0xf bank_mask:0xf// 000000006B6C: 0AC8C8FA FF01501A
	v_mul_f32_dpp v101, v26, v101 row_newbcast:1 row_mask:0xf bank_mask:0xf// 000000006B74: 0ACACAFA FF01511A
	v_mul_f32_dpp v102, v26, v102 row_newbcast:2 row_mask:0xf bank_mask:0xf// 000000006B7C: 0ACCCCFA FF01521A
	v_mul_f32_dpp v103, v26, v103 row_newbcast:3 row_mask:0xf bank_mask:0xf// 000000006B84: 0ACECEFA FF01531A
	v_mul_f32_dpp v104, v26, v104 row_newbcast:0 row_mask:0xf bank_mask:0xf// 000000006B8C: 0AD0D0FA FF01501A
	v_mul_f32_dpp v105, v26, v105 row_newbcast:1 row_mask:0xf bank_mask:0xf// 000000006B94: 0AD2D2FA FF01511A
	v_mul_f32_dpp v106, v26, v106 row_newbcast:2 row_mask:0xf bank_mask:0xf// 000000006B9C: 0AD4D4FA FF01521A
	v_mul_f32_dpp v107, v26, v107 row_newbcast:3 row_mask:0xf bank_mask:0xf// 000000006BA4: 0AD6D6FA FF01531A
	v_mul_f32_dpp v108, v26, v108 row_newbcast:0 row_mask:0xf bank_mask:0xf// 000000006BAC: 0AD8D8FA FF01501A
	v_mul_f32_dpp v109, v26, v109 row_newbcast:1 row_mask:0xf bank_mask:0xf// 000000006BB4: 0ADADAFA FF01511A
	v_mul_f32_dpp v110, v26, v110 row_newbcast:2 row_mask:0xf bank_mask:0xf// 000000006BBC: 0ADCDCFA FF01521A
	v_mul_f32_dpp v111, v26, v111 row_newbcast:3 row_mask:0xf bank_mask:0xf// 000000006BC4: 0ADEDEFA FF01531A
	v_mul_f32_dpp v112, v26, v112 row_newbcast:0 row_mask:0xf bank_mask:0xf// 000000006BCC: 0AE0E0FA FF01501A
	v_mul_f32_dpp v113, v26, v113 row_newbcast:1 row_mask:0xf bank_mask:0xf// 000000006BD4: 0AE2E2FA FF01511A
	v_mul_f32_dpp v114, v26, v114 row_newbcast:2 row_mask:0xf bank_mask:0xf// 000000006BDC: 0AE4E4FA FF01521A
	v_mul_f32_dpp v115, v26, v115 row_newbcast:3 row_mask:0xf bank_mask:0xf// 000000006BE4: 0AE6E6FA FF01531A
	v_mov_b32_e32 v4, v34                                      // 000000006BEC: 7E080322
	v_mov_b32_e32 v5, v4                                       // 000000006BF0: 7E0A0304
	v_pk_mul_f32 v[68:69], v[4:5], v[68:69]                    // 000000006BF4: D3B14044 18028904
	v_pk_mul_f32 v[92:93], v[4:5], v[92:93]                    // 000000006BFC: D3B1405C 1802B904
	v_pk_mul_f32 v[70:71], v[4:5], v[70:71]                    // 000000006C04: D3B14046 18028D04
	v_pk_mul_f32 v[94:95], v[4:5], v[94:95]                    // 000000006C0C: D3B1405E 1802BD04
	v_mov_b32_e32 v4, v35                                      // 000000006C14: 7E080323
	v_mov_b32_e32 v5, v4                                       // 000000006C18: 7E0A0304
	v_pk_mul_f32 v[72:73], v[4:5], v[72:73]                    // 000000006C1C: D3B14048 18029104
	v_pk_mul_f32 v[96:97], v[4:5], v[96:97]                    // 000000006C24: D3B14060 1802C104
	v_pk_mul_f32 v[74:75], v[4:5], v[74:75]                    // 000000006C2C: D3B1404A 18029504
	v_pk_mul_f32 v[98:99], v[4:5], v[98:99]                    // 000000006C34: D3B14062 1802C504
	v_mov_b32_e32 v4, v36                                      // 000000006C3C: 7E080324
	v_mov_b32_e32 v5, v4                                       // 000000006C40: 7E0A0304
	v_pk_mul_f32 v[76:77], v[4:5], v[76:77]                    // 000000006C44: D3B1404C 18029904
	v_pk_mul_f32 v[100:101], v[4:5], v[100:101]                // 000000006C4C: D3B14064 1802C904
	v_pk_mul_f32 v[78:79], v[4:5], v[78:79]                    // 000000006C54: D3B1404E 18029D04
	v_pk_mul_f32 v[102:103], v[4:5], v[102:103]                // 000000006C5C: D3B14066 1802CD04
	v_mov_b32_e32 v4, v37                                      // 000000006C64: 7E080325
	v_mov_b32_e32 v5, v4                                       // 000000006C68: 7E0A0304
	v_pk_mul_f32 v[80:81], v[4:5], v[80:81]                    // 000000006C6C: D3B14050 1802A104
	v_pk_mul_f32 v[104:105], v[4:5], v[104:105]                // 000000006C74: D3B14068 1802D104
	v_pk_mul_f32 v[82:83], v[4:5], v[82:83]                    // 000000006C7C: D3B14052 1802A504
	v_pk_mul_f32 v[106:107], v[4:5], v[106:107]                // 000000006C84: D3B1406A 1802D504
	v_mov_b32_e32 v4, v38                                      // 000000006C8C: 7E080326
	v_mov_b32_e32 v5, v4                                       // 000000006C90: 7E0A0304
	v_pk_mul_f32 v[84:85], v[4:5], v[84:85]                    // 000000006C94: D3B14054 1802A904
	v_pk_mul_f32 v[108:109], v[4:5], v[108:109]                // 000000006C9C: D3B1406C 1802D904
	v_pk_mul_f32 v[86:87], v[4:5], v[86:87]                    // 000000006CA4: D3B14056 1802AD04
	v_pk_mul_f32 v[110:111], v[4:5], v[110:111]                // 000000006CAC: D3B1406E 1802DD04
	v_mov_b32_e32 v4, v39                                      // 000000006CB4: 7E080327
	v_mov_b32_e32 v5, v4                                       // 000000006CB8: 7E0A0304
	v_pk_mul_f32 v[88:89], v[4:5], v[88:89]                    // 000000006CBC: D3B14058 1802B104
	v_pk_mul_f32 v[112:113], v[4:5], v[112:113]                // 000000006CC4: D3B14070 1802E104
	v_pk_mul_f32 v[90:91], v[4:5], v[90:91]                    // 000000006CCC: D3B1405A 1802B504
	v_pk_mul_f32 v[114:115], v[4:5], v[114:115]                // 000000006CD4: D3B14072 1802E504
	s_cmp_eq_u32 s88, 0                                        // 000000006CDC: BF068058
	s_cbranch_scc0 label_1539                                  // 000000006CE0: BF84047D
	s_cmp_eq_u32 s89, 0                                        // 000000006CE4: BF068059
	s_cbranch_scc1 label_11B3                                  // 000000006CE8: BF8500F5
	v_mov_b32_e32 v8, v1                                       // 000000006CEC: 7E100301
	v_mov_b32_e32 v9, v1                                       // 000000006CF0: 7E120301
	s_mov_b32 s60, s6                                          // 000000006CF4: BEBC0006
	s_mov_b32 s61, s6                                          // 000000006CF8: BEBD0006
	v_pk_mul_f32 v[4:5], v[68:69], v[68:69]                    // 000000006CFC: D3B14004 18028944
	v_pk_mul_f32 v[6:7], v[70:71], v[70:71]                    // 000000006D04: D3B14006 18028D46
	v_pk_fma_f32 v[4:5], v[4:5], s[78:79], v[8:9]              // 000000006D0C: D3B04004 1C209D04
	v_pk_fma_f32 v[6:7], v[6:7], s[78:79], v[8:9]              // 000000006D14: D3B04006 1C209D06
	v_pk_mul_f32 v[4:5], v[4:5], v[68:69]                      // 000000006D1C: D3B14004 18028904
	v_pk_mul_f32 v[6:7], v[6:7], v[70:71]                      // 000000006D24: D3B14006 18028D06
	v_pk_mul_f32 v[4:5], v[4:5], s[60:61]                      // 000000006D2C: D3B14004 18007904
	v_pk_mul_f32 v[6:7], v[6:7], s[60:61]                      // 000000006D34: D3B14006 18007906
	v_exp_f32_e32 v4, v4                                       // 000000006D3C: 7E084104
	v_exp_f32_e32 v5, v5                                       // 000000006D40: 7E0A4105
	v_exp_f32_e32 v6, v6                                       // 000000006D44: 7E0C4106
	v_exp_f32_e32 v7, v7                                       // 000000006D48: 7E0E4107
	v_add_f32_e64 v4, v4, 1.0                                  // 000000006D4C: D1010004 0001E504
	v_add_f32_e64 v5, v5, 1.0                                  // 000000006D54: D1010005 0001E505
	v_add_f32_e64 v6, v6, 1.0                                  // 000000006D5C: D1010006 0001E506
	v_add_f32_e64 v7, v7, 1.0                                  // 000000006D64: D1010007 0001E507
	v_rcp_f32_e32 v4, v4                                       // 000000006D6C: 7E084504
	v_rcp_f32_e32 v5, v5                                       // 000000006D70: 7E0A4505
	v_rcp_f32_e32 v6, v6                                       // 000000006D74: 7E0C4506
	v_rcp_f32_e32 v7, v7                                       // 000000006D78: 7E0E4507
	v_mul_f32_e32 v68, v68, v4                                 // 000000006D7C: 0A880944
	v_mul_f32_e32 v69, v69, v5                                 // 000000006D80: 0A8A0B45
	v_mul_f32_e32 v70, v70, v6                                 // 000000006D84: 0A8C0D46
	v_mul_f32_e32 v71, v71, v7                                 // 000000006D88: 0A8E0F47
	v_mul_f32_e32 v68, v68, v92                                // 000000006D8C: 0A88B944
	v_mul_f32_e32 v69, v69, v93                                // 000000006D90: 0A8ABB45
	v_mul_f32_e32 v70, v70, v94                                // 000000006D94: 0A8CBD46
	v_mul_f32_e32 v71, v71, v95                                // 000000006D98: 0A8EBF47
	v_pk_mul_f32 v[4:5], v[72:73], v[72:73]                    // 000000006D9C: D3B14004 18029148
	v_pk_mul_f32 v[6:7], v[74:75], v[74:75]                    // 000000006DA4: D3B14006 1802954A
	v_pk_fma_f32 v[4:5], v[4:5], s[78:79], v[8:9]              // 000000006DAC: D3B04004 1C209D04
	v_pk_fma_f32 v[6:7], v[6:7], s[78:79], v[8:9]              // 000000006DB4: D3B04006 1C209D06
	v_pk_mul_f32 v[4:5], v[4:5], v[72:73]                      // 000000006DBC: D3B14004 18029104
	v_pk_mul_f32 v[6:7], v[6:7], v[74:75]                      // 000000006DC4: D3B14006 18029506
	v_pk_mul_f32 v[4:5], v[4:5], s[60:61]                      // 000000006DCC: D3B14004 18007904
	v_pk_mul_f32 v[6:7], v[6:7], s[60:61]                      // 000000006DD4: D3B14006 18007906
	v_exp_f32_e32 v4, v4                                       // 000000006DDC: 7E084104
	v_exp_f32_e32 v5, v5                                       // 000000006DE0: 7E0A4105
	v_exp_f32_e32 v6, v6                                       // 000000006DE4: 7E0C4106
	v_exp_f32_e32 v7, v7                                       // 000000006DE8: 7E0E4107
	v_add_f32_e64 v4, v4, 1.0                                  // 000000006DEC: D1010004 0001E504
	v_add_f32_e64 v5, v5, 1.0                                  // 000000006DF4: D1010005 0001E505
	v_add_f32_e64 v6, v6, 1.0                                  // 000000006DFC: D1010006 0001E506
	v_add_f32_e64 v7, v7, 1.0                                  // 000000006E04: D1010007 0001E507
	v_rcp_f32_e32 v4, v4                                       // 000000006E0C: 7E084504
	v_rcp_f32_e32 v5, v5                                       // 000000006E10: 7E0A4505
	v_rcp_f32_e32 v6, v6                                       // 000000006E14: 7E0C4506
	v_rcp_f32_e32 v7, v7                                       // 000000006E18: 7E0E4507
	v_mul_f32_e32 v72, v72, v4                                 // 000000006E1C: 0A900948
	v_mul_f32_e32 v73, v73, v5                                 // 000000006E20: 0A920B49
	v_mul_f32_e32 v74, v74, v6                                 // 000000006E24: 0A940D4A
	v_mul_f32_e32 v75, v75, v7                                 // 000000006E28: 0A960F4B
	v_mul_f32_e32 v72, v72, v96                                // 000000006E2C: 0A90C148
	v_mul_f32_e32 v73, v73, v97                                // 000000006E30: 0A92C349
	v_mul_f32_e32 v74, v74, v98                                // 000000006E34: 0A94C54A
	v_mul_f32_e32 v75, v75, v99                                // 000000006E38: 0A96C74B
	v_pk_mul_f32 v[4:5], v[76:77], v[76:77]                    // 000000006E3C: D3B14004 1802994C
	v_pk_mul_f32 v[6:7], v[78:79], v[78:79]                    // 000000006E44: D3B14006 18029D4E
	v_pk_fma_f32 v[4:5], v[4:5], s[78:79], v[8:9]              // 000000006E4C: D3B04004 1C209D04
	v_pk_fma_f32 v[6:7], v[6:7], s[78:79], v[8:9]              // 000000006E54: D3B04006 1C209D06
	v_pk_mul_f32 v[4:5], v[4:5], v[76:77]                      // 000000006E5C: D3B14004 18029904
	v_pk_mul_f32 v[6:7], v[6:7], v[78:79]                      // 000000006E64: D3B14006 18029D06
	v_pk_mul_f32 v[4:5], v[4:5], s[60:61]                      // 000000006E6C: D3B14004 18007904
	v_pk_mul_f32 v[6:7], v[6:7], s[60:61]                      // 000000006E74: D3B14006 18007906
	v_exp_f32_e32 v4, v4                                       // 000000006E7C: 7E084104
	v_exp_f32_e32 v5, v5                                       // 000000006E80: 7E0A4105
	v_exp_f32_e32 v6, v6                                       // 000000006E84: 7E0C4106
	v_exp_f32_e32 v7, v7                                       // 000000006E88: 7E0E4107
	v_add_f32_e64 v4, v4, 1.0                                  // 000000006E8C: D1010004 0001E504
	v_add_f32_e64 v5, v5, 1.0                                  // 000000006E94: D1010005 0001E505
	v_add_f32_e64 v6, v6, 1.0                                  // 000000006E9C: D1010006 0001E506
	v_add_f32_e64 v7, v7, 1.0                                  // 000000006EA4: D1010007 0001E507
	v_rcp_f32_e32 v4, v4                                       // 000000006EAC: 7E084504
	v_rcp_f32_e32 v5, v5                                       // 000000006EB0: 7E0A4505
	v_rcp_f32_e32 v6, v6                                       // 000000006EB4: 7E0C4506
	v_rcp_f32_e32 v7, v7                                       // 000000006EB8: 7E0E4507
	v_mul_f32_e32 v76, v76, v4                                 // 000000006EBC: 0A98094C
	v_mul_f32_e32 v77, v77, v5                                 // 000000006EC0: 0A9A0B4D
	v_mul_f32_e32 v78, v78, v6                                 // 000000006EC4: 0A9C0D4E
	v_mul_f32_e32 v79, v79, v7                                 // 000000006EC8: 0A9E0F4F
	v_mul_f32_e32 v76, v76, v100                               // 000000006ECC: 0A98C94C
	v_mul_f32_e32 v77, v77, v101                               // 000000006ED0: 0A9ACB4D
	v_mul_f32_e32 v78, v78, v102                               // 000000006ED4: 0A9CCD4E
	v_mul_f32_e32 v79, v79, v103                               // 000000006ED8: 0A9ECF4F
	v_pk_mul_f32 v[4:5], v[80:81], v[80:81]                    // 000000006EDC: D3B14004 1802A150
	v_pk_mul_f32 v[6:7], v[82:83], v[82:83]                    // 000000006EE4: D3B14006 1802A552
	v_pk_fma_f32 v[4:5], v[4:5], s[78:79], v[8:9]              // 000000006EEC: D3B04004 1C209D04
	v_pk_fma_f32 v[6:7], v[6:7], s[78:79], v[8:9]              // 000000006EF4: D3B04006 1C209D06
	v_pk_mul_f32 v[4:5], v[4:5], v[80:81]                      // 000000006EFC: D3B14004 1802A104
	v_pk_mul_f32 v[6:7], v[6:7], v[82:83]                      // 000000006F04: D3B14006 1802A506
	v_pk_mul_f32 v[4:5], v[4:5], s[60:61]                      // 000000006F0C: D3B14004 18007904
	v_pk_mul_f32 v[6:7], v[6:7], s[60:61]                      // 000000006F14: D3B14006 18007906
	v_exp_f32_e32 v4, v4                                       // 000000006F1C: 7E084104
	v_exp_f32_e32 v5, v5                                       // 000000006F20: 7E0A4105
	v_exp_f32_e32 v6, v6                                       // 000000006F24: 7E0C4106
	v_exp_f32_e32 v7, v7                                       // 000000006F28: 7E0E4107
	v_add_f32_e64 v4, v4, 1.0                                  // 000000006F2C: D1010004 0001E504
	v_add_f32_e64 v5, v5, 1.0                                  // 000000006F34: D1010005 0001E505
	v_add_f32_e64 v6, v6, 1.0                                  // 000000006F3C: D1010006 0001E506
	v_add_f32_e64 v7, v7, 1.0                                  // 000000006F44: D1010007 0001E507
	v_rcp_f32_e32 v4, v4                                       // 000000006F4C: 7E084504
	v_rcp_f32_e32 v5, v5                                       // 000000006F50: 7E0A4505
	v_rcp_f32_e32 v6, v6                                       // 000000006F54: 7E0C4506
	v_rcp_f32_e32 v7, v7                                       // 000000006F58: 7E0E4507
	v_mul_f32_e32 v80, v80, v4                                 // 000000006F5C: 0AA00950
	v_mul_f32_e32 v81, v81, v5                                 // 000000006F60: 0AA20B51
	v_mul_f32_e32 v82, v82, v6                                 // 000000006F64: 0AA40D52
	v_mul_f32_e32 v83, v83, v7                                 // 000000006F68: 0AA60F53
	v_mul_f32_e32 v80, v80, v104                               // 000000006F6C: 0AA0D150
	v_mul_f32_e32 v81, v81, v105                               // 000000006F70: 0AA2D351
	v_mul_f32_e32 v82, v82, v106                               // 000000006F74: 0AA4D552
	v_mul_f32_e32 v83, v83, v107                               // 000000006F78: 0AA6D753
	v_pk_mul_f32 v[4:5], v[84:85], v[84:85]                    // 000000006F7C: D3B14004 1802A954
	v_pk_mul_f32 v[6:7], v[86:87], v[86:87]                    // 000000006F84: D3B14006 1802AD56
	v_pk_fma_f32 v[4:5], v[4:5], s[78:79], v[8:9]              // 000000006F8C: D3B04004 1C209D04
	v_pk_fma_f32 v[6:7], v[6:7], s[78:79], v[8:9]              // 000000006F94: D3B04006 1C209D06
	v_pk_mul_f32 v[4:5], v[4:5], v[84:85]                      // 000000006F9C: D3B14004 1802A904
	v_pk_mul_f32 v[6:7], v[6:7], v[86:87]                      // 000000006FA4: D3B14006 1802AD06
	v_pk_mul_f32 v[4:5], v[4:5], s[60:61]                      // 000000006FAC: D3B14004 18007904
	v_pk_mul_f32 v[6:7], v[6:7], s[60:61]                      // 000000006FB4: D3B14006 18007906
	v_exp_f32_e32 v4, v4                                       // 000000006FBC: 7E084104
	v_exp_f32_e32 v5, v5                                       // 000000006FC0: 7E0A4105
	v_exp_f32_e32 v6, v6                                       // 000000006FC4: 7E0C4106
	v_exp_f32_e32 v7, v7                                       // 000000006FC8: 7E0E4107
	v_add_f32_e64 v4, v4, 1.0                                  // 000000006FCC: D1010004 0001E504
	v_add_f32_e64 v5, v5, 1.0                                  // 000000006FD4: D1010005 0001E505
	v_add_f32_e64 v6, v6, 1.0                                  // 000000006FDC: D1010006 0001E506
	v_add_f32_e64 v7, v7, 1.0                                  // 000000006FE4: D1010007 0001E507
	v_rcp_f32_e32 v4, v4                                       // 000000006FEC: 7E084504
	v_rcp_f32_e32 v5, v5                                       // 000000006FF0: 7E0A4505
	v_rcp_f32_e32 v6, v6                                       // 000000006FF4: 7E0C4506
	v_rcp_f32_e32 v7, v7                                       // 000000006FF8: 7E0E4507
	v_mul_f32_e32 v84, v84, v4                                 // 000000006FFC: 0AA80954
	v_mul_f32_e32 v85, v85, v5                                 // 000000007000: 0AAA0B55
	v_mul_f32_e32 v86, v86, v6                                 // 000000007004: 0AAC0D56
	v_mul_f32_e32 v87, v87, v7                                 // 000000007008: 0AAE0F57
	v_mul_f32_e32 v84, v84, v108                               // 00000000700C: 0AA8D954
	v_mul_f32_e32 v85, v85, v109                               // 000000007010: 0AAADB55
	v_mul_f32_e32 v86, v86, v110                               // 000000007014: 0AACDD56
	v_mul_f32_e32 v87, v87, v111                               // 000000007018: 0AAEDF57
	v_pk_mul_f32 v[4:5], v[88:89], v[88:89]                    // 00000000701C: D3B14004 1802B158
	v_pk_mul_f32 v[6:7], v[90:91], v[90:91]                    // 000000007024: D3B14006 1802B55A
	v_pk_fma_f32 v[4:5], v[4:5], s[78:79], v[8:9]              // 00000000702C: D3B04004 1C209D04
	v_pk_fma_f32 v[6:7], v[6:7], s[78:79], v[8:9]              // 000000007034: D3B04006 1C209D06
	v_pk_mul_f32 v[4:5], v[4:5], v[88:89]                      // 00000000703C: D3B14004 1802B104
	v_pk_mul_f32 v[6:7], v[6:7], v[90:91]                      // 000000007044: D3B14006 1802B506
	v_pk_mul_f32 v[4:5], v[4:5], s[60:61]                      // 00000000704C: D3B14004 18007904
	v_pk_mul_f32 v[6:7], v[6:7], s[60:61]                      // 000000007054: D3B14006 18007906
	v_exp_f32_e32 v4, v4                                       // 00000000705C: 7E084104
	v_exp_f32_e32 v5, v5                                       // 000000007060: 7E0A4105
	v_exp_f32_e32 v6, v6                                       // 000000007064: 7E0C4106
	v_exp_f32_e32 v7, v7                                       // 000000007068: 7E0E4107
	v_add_f32_e64 v4, v4, 1.0                                  // 00000000706C: D1010004 0001E504
	v_add_f32_e64 v5, v5, 1.0                                  // 000000007074: D1010005 0001E505
	v_add_f32_e64 v6, v6, 1.0                                  // 00000000707C: D1010006 0001E506
	v_add_f32_e64 v7, v7, 1.0                                  // 000000007084: D1010007 0001E507
	v_rcp_f32_e32 v4, v4                                       // 00000000708C: 7E084504
	v_rcp_f32_e32 v5, v5                                       // 000000007090: 7E0A4505
	v_rcp_f32_e32 v6, v6                                       // 000000007094: 7E0C4506
	v_rcp_f32_e32 v7, v7                                       // 000000007098: 7E0E4507
	v_mul_f32_e32 v88, v88, v4                                 // 00000000709C: 0AB00958
	v_mul_f32_e32 v89, v89, v5                                 // 0000000070A0: 0AB20B59
	v_mul_f32_e32 v90, v90, v6                                 // 0000000070A4: 0AB40D5A
	v_mul_f32_e32 v91, v91, v7                                 // 0000000070A8: 0AB60F5B
	v_mul_f32_e32 v88, v88, v112                               // 0000000070AC: 0AB0E158
	v_mul_f32_e32 v89, v89, v113                               // 0000000070B0: 0AB2E359
	v_mul_f32_e32 v90, v90, v114                               // 0000000070B4: 0AB4E55A
	v_mul_f32_e32 v91, v91, v115                               // 0000000070B8: 0AB6E75B
	s_branch label_1273                                        // 0000000070BC: BF8200C0

00000000000070c0 <label_11B3>:
	v_mul_f32_e64 v4, -v68, s6                                 // 0000000070C0: D1050004 20000D44
	v_mul_f32_e64 v5, -v69, s6                                 // 0000000070C8: D1050005 20000D45
	v_mul_f32_e64 v6, -v70, s6                                 // 0000000070D0: D1050006 20000D46
	v_mul_f32_e64 v7, -v71, s6                                 // 0000000070D8: D1050007 20000D47
	v_exp_f32_e32 v4, v4                                       // 0000000070E0: 7E084104
	v_exp_f32_e32 v5, v5                                       // 0000000070E4: 7E0A4105
	v_exp_f32_e32 v6, v6                                       // 0000000070E8: 7E0C4106
	v_exp_f32_e32 v7, v7                                       // 0000000070EC: 7E0E4107
	v_add_f32_e64 v4, v4, 1.0                                  // 0000000070F0: D1010004 0001E504
	v_add_f32_e64 v5, v5, 1.0                                  // 0000000070F8: D1010005 0001E505
	v_add_f32_e64 v6, v6, 1.0                                  // 000000007100: D1010006 0001E506
	v_add_f32_e64 v7, v7, 1.0                                  // 000000007108: D1010007 0001E507
	v_rcp_f32_e32 v4, v4                                       // 000000007110: 7E084504
	v_rcp_f32_e32 v5, v5                                       // 000000007114: 7E0A4505
	v_rcp_f32_e32 v6, v6                                       // 000000007118: 7E0C4506
	v_rcp_f32_e32 v7, v7                                       // 00000000711C: 7E0E4507
	v_mul_f32_e32 v68, v68, v4                                 // 000000007120: 0A880944
	v_mul_f32_e32 v69, v69, v5                                 // 000000007124: 0A8A0B45
	v_mul_f32_e32 v70, v70, v6                                 // 000000007128: 0A8C0D46
	v_mul_f32_e32 v71, v71, v7                                 // 00000000712C: 0A8E0F47
	v_mul_f32_e32 v68, v68, v92                                // 000000007130: 0A88B944
	v_mul_f32_e32 v69, v69, v93                                // 000000007134: 0A8ABB45
	v_mul_f32_e32 v70, v70, v94                                // 000000007138: 0A8CBD46
	v_mul_f32_e32 v71, v71, v95                                // 00000000713C: 0A8EBF47
	v_mul_f32_e64 v4, -v72, s6                                 // 000000007140: D1050004 20000D48
	v_mul_f32_e64 v5, -v73, s6                                 // 000000007148: D1050005 20000D49
	v_mul_f32_e64 v6, -v74, s6                                 // 000000007150: D1050006 20000D4A
	v_mul_f32_e64 v7, -v75, s6                                 // 000000007158: D1050007 20000D4B
	v_exp_f32_e32 v4, v4                                       // 000000007160: 7E084104
	v_exp_f32_e32 v5, v5                                       // 000000007164: 7E0A4105
	v_exp_f32_e32 v6, v6                                       // 000000007168: 7E0C4106
	v_exp_f32_e32 v7, v7                                       // 00000000716C: 7E0E4107
	v_add_f32_e64 v4, v4, 1.0                                  // 000000007170: D1010004 0001E504
	v_add_f32_e64 v5, v5, 1.0                                  // 000000007178: D1010005 0001E505
	v_add_f32_e64 v6, v6, 1.0                                  // 000000007180: D1010006 0001E506
	v_add_f32_e64 v7, v7, 1.0                                  // 000000007188: D1010007 0001E507
	v_rcp_f32_e32 v4, v4                                       // 000000007190: 7E084504
	v_rcp_f32_e32 v5, v5                                       // 000000007194: 7E0A4505
	v_rcp_f32_e32 v6, v6                                       // 000000007198: 7E0C4506
	v_rcp_f32_e32 v7, v7                                       // 00000000719C: 7E0E4507
	v_mul_f32_e32 v72, v72, v4                                 // 0000000071A0: 0A900948
	v_mul_f32_e32 v73, v73, v5                                 // 0000000071A4: 0A920B49
	v_mul_f32_e32 v74, v74, v6                                 // 0000000071A8: 0A940D4A
	v_mul_f32_e32 v75, v75, v7                                 // 0000000071AC: 0A960F4B
	v_mul_f32_e32 v72, v72, v96                                // 0000000071B0: 0A90C148
	v_mul_f32_e32 v73, v73, v97                                // 0000000071B4: 0A92C349
	v_mul_f32_e32 v74, v74, v98                                // 0000000071B8: 0A94C54A
	v_mul_f32_e32 v75, v75, v99                                // 0000000071BC: 0A96C74B
	v_mul_f32_e64 v4, -v76, s6                                 // 0000000071C0: D1050004 20000D4C
	v_mul_f32_e64 v5, -v77, s6                                 // 0000000071C8: D1050005 20000D4D
	v_mul_f32_e64 v6, -v78, s6                                 // 0000000071D0: D1050006 20000D4E
	v_mul_f32_e64 v7, -v79, s6                                 // 0000000071D8: D1050007 20000D4F
	v_exp_f32_e32 v4, v4                                       // 0000000071E0: 7E084104
	v_exp_f32_e32 v5, v5                                       // 0000000071E4: 7E0A4105
	v_exp_f32_e32 v6, v6                                       // 0000000071E8: 7E0C4106
	v_exp_f32_e32 v7, v7                                       // 0000000071EC: 7E0E4107
	v_add_f32_e64 v4, v4, 1.0                                  // 0000000071F0: D1010004 0001E504
	v_add_f32_e64 v5, v5, 1.0                                  // 0000000071F8: D1010005 0001E505
	v_add_f32_e64 v6, v6, 1.0                                  // 000000007200: D1010006 0001E506
	v_add_f32_e64 v7, v7, 1.0                                  // 000000007208: D1010007 0001E507
	v_rcp_f32_e32 v4, v4                                       // 000000007210: 7E084504
	v_rcp_f32_e32 v5, v5                                       // 000000007214: 7E0A4505
	v_rcp_f32_e32 v6, v6                                       // 000000007218: 7E0C4506
	v_rcp_f32_e32 v7, v7                                       // 00000000721C: 7E0E4507
	v_mul_f32_e32 v76, v76, v4                                 // 000000007220: 0A98094C
	v_mul_f32_e32 v77, v77, v5                                 // 000000007224: 0A9A0B4D
	v_mul_f32_e32 v78, v78, v6                                 // 000000007228: 0A9C0D4E
	v_mul_f32_e32 v79, v79, v7                                 // 00000000722C: 0A9E0F4F
	v_mul_f32_e32 v76, v76, v100                               // 000000007230: 0A98C94C
	v_mul_f32_e32 v77, v77, v101                               // 000000007234: 0A9ACB4D
	v_mul_f32_e32 v78, v78, v102                               // 000000007238: 0A9CCD4E
	v_mul_f32_e32 v79, v79, v103                               // 00000000723C: 0A9ECF4F
	v_mul_f32_e64 v4, -v80, s6                                 // 000000007240: D1050004 20000D50
	v_mul_f32_e64 v5, -v81, s6                                 // 000000007248: D1050005 20000D51
	v_mul_f32_e64 v6, -v82, s6                                 // 000000007250: D1050006 20000D52
	v_mul_f32_e64 v7, -v83, s6                                 // 000000007258: D1050007 20000D53
	v_exp_f32_e32 v4, v4                                       // 000000007260: 7E084104
	v_exp_f32_e32 v5, v5                                       // 000000007264: 7E0A4105
	v_exp_f32_e32 v6, v6                                       // 000000007268: 7E0C4106
	v_exp_f32_e32 v7, v7                                       // 00000000726C: 7E0E4107
	v_add_f32_e64 v4, v4, 1.0                                  // 000000007270: D1010004 0001E504
	v_add_f32_e64 v5, v5, 1.0                                  // 000000007278: D1010005 0001E505
	v_add_f32_e64 v6, v6, 1.0                                  // 000000007280: D1010006 0001E506
	v_add_f32_e64 v7, v7, 1.0                                  // 000000007288: D1010007 0001E507
	v_rcp_f32_e32 v4, v4                                       // 000000007290: 7E084504
	v_rcp_f32_e32 v5, v5                                       // 000000007294: 7E0A4505
	v_rcp_f32_e32 v6, v6                                       // 000000007298: 7E0C4506
	v_rcp_f32_e32 v7, v7                                       // 00000000729C: 7E0E4507
	v_mul_f32_e32 v80, v80, v4                                 // 0000000072A0: 0AA00950
	v_mul_f32_e32 v81, v81, v5                                 // 0000000072A4: 0AA20B51
	v_mul_f32_e32 v82, v82, v6                                 // 0000000072A8: 0AA40D52
	v_mul_f32_e32 v83, v83, v7                                 // 0000000072AC: 0AA60F53
	v_mul_f32_e32 v80, v80, v104                               // 0000000072B0: 0AA0D150
	v_mul_f32_e32 v81, v81, v105                               // 0000000072B4: 0AA2D351
	v_mul_f32_e32 v82, v82, v106                               // 0000000072B8: 0AA4D552
	v_mul_f32_e32 v83, v83, v107                               // 0000000072BC: 0AA6D753
	v_mul_f32_e64 v4, -v84, s6                                 // 0000000072C0: D1050004 20000D54
	v_mul_f32_e64 v5, -v85, s6                                 // 0000000072C8: D1050005 20000D55
	v_mul_f32_e64 v6, -v86, s6                                 // 0000000072D0: D1050006 20000D56
	v_mul_f32_e64 v7, -v87, s6                                 // 0000000072D8: D1050007 20000D57
	v_exp_f32_e32 v4, v4                                       // 0000000072E0: 7E084104
	v_exp_f32_e32 v5, v5                                       // 0000000072E4: 7E0A4105
	v_exp_f32_e32 v6, v6                                       // 0000000072E8: 7E0C4106
	v_exp_f32_e32 v7, v7                                       // 0000000072EC: 7E0E4107
	v_add_f32_e64 v4, v4, 1.0                                  // 0000000072F0: D1010004 0001E504
	v_add_f32_e64 v5, v5, 1.0                                  // 0000000072F8: D1010005 0001E505
	v_add_f32_e64 v6, v6, 1.0                                  // 000000007300: D1010006 0001E506
	v_add_f32_e64 v7, v7, 1.0                                  // 000000007308: D1010007 0001E507
	v_rcp_f32_e32 v4, v4                                       // 000000007310: 7E084504
	v_rcp_f32_e32 v5, v5                                       // 000000007314: 7E0A4505
	v_rcp_f32_e32 v6, v6                                       // 000000007318: 7E0C4506
	v_rcp_f32_e32 v7, v7                                       // 00000000731C: 7E0E4507
	v_mul_f32_e32 v84, v84, v4                                 // 000000007320: 0AA80954
	v_mul_f32_e32 v85, v85, v5                                 // 000000007324: 0AAA0B55
	v_mul_f32_e32 v86, v86, v6                                 // 000000007328: 0AAC0D56
	v_mul_f32_e32 v87, v87, v7                                 // 00000000732C: 0AAE0F57
	v_mul_f32_e32 v84, v84, v108                               // 000000007330: 0AA8D954
	v_mul_f32_e32 v85, v85, v109                               // 000000007334: 0AAADB55
	v_mul_f32_e32 v86, v86, v110                               // 000000007338: 0AACDD56
	v_mul_f32_e32 v87, v87, v111                               // 00000000733C: 0AAEDF57
	v_mul_f32_e64 v4, -v88, s6                                 // 000000007340: D1050004 20000D58
	v_mul_f32_e64 v5, -v89, s6                                 // 000000007348: D1050005 20000D59
	v_mul_f32_e64 v6, -v90, s6                                 // 000000007350: D1050006 20000D5A
	v_mul_f32_e64 v7, -v91, s6                                 // 000000007358: D1050007 20000D5B
	v_exp_f32_e32 v4, v4                                       // 000000007360: 7E084104
	v_exp_f32_e32 v5, v5                                       // 000000007364: 7E0A4105
	v_exp_f32_e32 v6, v6                                       // 000000007368: 7E0C4106
	v_exp_f32_e32 v7, v7                                       // 00000000736C: 7E0E4107
	v_add_f32_e64 v4, v4, 1.0                                  // 000000007370: D1010004 0001E504
	v_add_f32_e64 v5, v5, 1.0                                  // 000000007378: D1010005 0001E505
	v_add_f32_e64 v6, v6, 1.0                                  // 000000007380: D1010006 0001E506
	v_add_f32_e64 v7, v7, 1.0                                  // 000000007388: D1010007 0001E507
	v_rcp_f32_e32 v4, v4                                       // 000000007390: 7E084504
	v_rcp_f32_e32 v5, v5                                       // 000000007394: 7E0A4505
	v_rcp_f32_e32 v6, v6                                       // 000000007398: 7E0C4506
	v_rcp_f32_e32 v7, v7                                       // 00000000739C: 7E0E4507
	v_mul_f32_e32 v88, v88, v4                                 // 0000000073A0: 0AB00958
	v_mul_f32_e32 v89, v89, v5                                 // 0000000073A4: 0AB20B59
	v_mul_f32_e32 v90, v90, v6                                 // 0000000073A8: 0AB40D5A
	v_mul_f32_e32 v91, v91, v7                                 // 0000000073AC: 0AB60F5B
	v_mul_f32_e32 v88, v88, v112                               // 0000000073B0: 0AB0E158
	v_mul_f32_e32 v89, v89, v113                               // 0000000073B4: 0AB2E359
	v_mul_f32_e32 v90, v90, v114                               // 0000000073B8: 0AB4E55A
	v_mul_f32_e32 v91, v91, v115                               // 0000000073BC: 0AB6E75B

00000000000073c0 <label_1273>:
	v_cmp_u_f32_e64 s[46:47], v68, v68                         // 0000000073C0: D048002E 00028944
	v_add3_u32 v16, v68, v19, 1                                // 0000000073C8: D1FF0010 02062744
	v_cndmask_b32_e64 v4, v16, v18, s[46:47]                   // 0000000073D0: D1000004 00BA2510
	v_cmp_u_f32_e64 s[46:47], v69, v69                         // 0000000073D8: D048002E 00028B45
	v_add3_u32 v16, v69, v19, 1                                // 0000000073E0: D1FF0010 02062745
	v_cndmask_b32_e64 v5, v16, v18, s[46:47]                   // 0000000073E8: D1000005 00BA2510
	v_perm_b32 v68, v5, v4, s52                                // 0000000073F0: D1ED0044 00D20905
	v_cmp_u_f32_e64 s[46:47], v70, v70                         // 0000000073F8: D048002E 00028D46
	v_add3_u32 v16, v70, v19, 1                                // 000000007400: D1FF0010 02062746
	v_cndmask_b32_e64 v4, v16, v18, s[46:47]                   // 000000007408: D1000004 00BA2510
	v_cmp_u_f32_e64 s[46:47], v71, v71                         // 000000007410: D048002E 00028F47
	v_add3_u32 v16, v71, v19, 1                                // 000000007418: D1FF0010 02062747
	v_cndmask_b32_e64 v5, v16, v18, s[46:47]                   // 000000007420: D1000005 00BA2510
	v_perm_b32 v69, v5, v4, s52                                // 000000007428: D1ED0045 00D20905
	v_cmp_u_f32_e64 s[46:47], v72, v72                         // 000000007430: D048002E 00029148
	v_add3_u32 v16, v72, v19, 1                                // 000000007438: D1FF0010 02062748
	v_cndmask_b32_e64 v4, v16, v18, s[46:47]                   // 000000007440: D1000004 00BA2510
	v_cmp_u_f32_e64 s[46:47], v73, v73                         // 000000007448: D048002E 00029349
	v_add3_u32 v16, v73, v19, 1                                // 000000007450: D1FF0010 02062749
	v_cndmask_b32_e64 v5, v16, v18, s[46:47]                   // 000000007458: D1000005 00BA2510
	v_perm_b32 v70, v5, v4, s52                                // 000000007460: D1ED0046 00D20905
	v_cmp_u_f32_e64 s[46:47], v74, v74                         // 000000007468: D048002E 0002954A
	v_add3_u32 v16, v74, v19, 1                                // 000000007470: D1FF0010 0206274A
	v_cndmask_b32_e64 v4, v16, v18, s[46:47]                   // 000000007478: D1000004 00BA2510
	v_cmp_u_f32_e64 s[46:47], v75, v75                         // 000000007480: D048002E 0002974B
	v_add3_u32 v16, v75, v19, 1                                // 000000007488: D1FF0010 0206274B
	v_cndmask_b32_e64 v5, v16, v18, s[46:47]                   // 000000007490: D1000005 00BA2510
	v_perm_b32 v71, v5, v4, s52                                // 000000007498: D1ED0047 00D20905
	v_cmp_u_f32_e64 s[46:47], v76, v76                         // 0000000074A0: D048002E 0002994C
	v_add3_u32 v16, v76, v19, 1                                // 0000000074A8: D1FF0010 0206274C
	v_cndmask_b32_e64 v4, v16, v18, s[46:47]                   // 0000000074B0: D1000004 00BA2510
	v_cmp_u_f32_e64 s[46:47], v77, v77                         // 0000000074B8: D048002E 00029B4D
	v_add3_u32 v16, v77, v19, 1                                // 0000000074C0: D1FF0010 0206274D
	v_cndmask_b32_e64 v5, v16, v18, s[46:47]                   // 0000000074C8: D1000005 00BA2510
	v_perm_b32 v72, v5, v4, s52                                // 0000000074D0: D1ED0048 00D20905
	v_cmp_u_f32_e64 s[46:47], v78, v78                         // 0000000074D8: D048002E 00029D4E
	v_add3_u32 v16, v78, v19, 1                                // 0000000074E0: D1FF0010 0206274E
	v_cndmask_b32_e64 v4, v16, v18, s[46:47]                   // 0000000074E8: D1000004 00BA2510
	v_cmp_u_f32_e64 s[46:47], v79, v79                         // 0000000074F0: D048002E 00029F4F
	v_add3_u32 v16, v79, v19, 1                                // 0000000074F8: D1FF0010 0206274F
	v_cndmask_b32_e64 v5, v16, v18, s[46:47]                   // 000000007500: D1000005 00BA2510
	v_perm_b32 v73, v5, v4, s52                                // 000000007508: D1ED0049 00D20905
	v_cmp_u_f32_e64 s[46:47], v80, v80                         // 000000007510: D048002E 0002A150
	v_add3_u32 v16, v80, v19, 1                                // 000000007518: D1FF0010 02062750
	v_cndmask_b32_e64 v4, v16, v18, s[46:47]                   // 000000007520: D1000004 00BA2510
	v_cmp_u_f32_e64 s[46:47], v81, v81                         // 000000007528: D048002E 0002A351
	v_add3_u32 v16, v81, v19, 1                                // 000000007530: D1FF0010 02062751
	v_cndmask_b32_e64 v5, v16, v18, s[46:47]                   // 000000007538: D1000005 00BA2510
	v_perm_b32 v74, v5, v4, s52                                // 000000007540: D1ED004A 00D20905
	v_cmp_u_f32_e64 s[46:47], v82, v82                         // 000000007548: D048002E 0002A552
	v_add3_u32 v16, v82, v19, 1                                // 000000007550: D1FF0010 02062752
	v_cndmask_b32_e64 v4, v16, v18, s[46:47]                   // 000000007558: D1000004 00BA2510
	v_cmp_u_f32_e64 s[46:47], v83, v83                         // 000000007560: D048002E 0002A753
	v_add3_u32 v16, v83, v19, 1                                // 000000007568: D1FF0010 02062753
	v_cndmask_b32_e64 v5, v16, v18, s[46:47]                   // 000000007570: D1000005 00BA2510
	v_perm_b32 v75, v5, v4, s52                                // 000000007578: D1ED004B 00D20905
	v_cmp_u_f32_e64 s[46:47], v84, v84                         // 000000007580: D048002E 0002A954
	v_add3_u32 v16, v84, v19, 1                                // 000000007588: D1FF0010 02062754
	v_cndmask_b32_e64 v4, v16, v18, s[46:47]                   // 000000007590: D1000004 00BA2510
	v_cmp_u_f32_e64 s[46:47], v85, v85                         // 000000007598: D048002E 0002AB55
	v_add3_u32 v16, v85, v19, 1                                // 0000000075A0: D1FF0010 02062755
	v_cndmask_b32_e64 v5, v16, v18, s[46:47]                   // 0000000075A8: D1000005 00BA2510
	v_perm_b32 v76, v5, v4, s52                                // 0000000075B0: D1ED004C 00D20905
	v_cmp_u_f32_e64 s[46:47], v86, v86                         // 0000000075B8: D048002E 0002AD56
	v_add3_u32 v16, v86, v19, 1                                // 0000000075C0: D1FF0010 02062756
	v_cndmask_b32_e64 v4, v16, v18, s[46:47]                   // 0000000075C8: D1000004 00BA2510
	v_cmp_u_f32_e64 s[46:47], v87, v87                         // 0000000075D0: D048002E 0002AF57
	v_add3_u32 v16, v87, v19, 1                                // 0000000075D8: D1FF0010 02062757
	v_cndmask_b32_e64 v5, v16, v18, s[46:47]                   // 0000000075E0: D1000005 00BA2510
	v_perm_b32 v77, v5, v4, s52                                // 0000000075E8: D1ED004D 00D20905
	v_cmp_u_f32_e64 s[46:47], v88, v88                         // 0000000075F0: D048002E 0002B158
	v_add3_u32 v16, v88, v19, 1                                // 0000000075F8: D1FF0010 02062758
	v_cndmask_b32_e64 v4, v16, v18, s[46:47]                   // 000000007600: D1000004 00BA2510
	v_cmp_u_f32_e64 s[46:47], v89, v89                         // 000000007608: D048002E 0002B359
	v_add3_u32 v16, v89, v19, 1                                // 000000007610: D1FF0010 02062759
	v_cndmask_b32_e64 v5, v16, v18, s[46:47]                   // 000000007618: D1000005 00BA2510
	v_perm_b32 v78, v5, v4, s52                                // 000000007620: D1ED004E 00D20905
	v_cmp_u_f32_e64 s[46:47], v90, v90                         // 000000007628: D048002E 0002B55A
	v_add3_u32 v16, v90, v19, 1                                // 000000007630: D1FF0010 0206275A
	v_cndmask_b32_e64 v4, v16, v18, s[46:47]                   // 000000007638: D1000004 00BA2510
	v_cmp_u_f32_e64 s[46:47], v91, v91                         // 000000007640: D048002E 0002B75B
	v_add3_u32 v16, v91, v19, 1                                // 000000007648: D1FF0010 0206275B
	v_cndmask_b32_e64 v5, v16, v18, s[46:47]                   // 000000007650: D1000005 00BA2510
	v_perm_b32 v79, v5, v4, s52                                // 000000007658: D1ED004F 00D20905
	ds_write_b64 v20, v[68:69]                                 // 000000007660: D89A0000 00004414
	ds_write_b64 v20, v[70:71] offset:2176                     // 000000007668: D89A0880 00004614
	ds_write_b64 v20, v[72:73] offset:4352                     // 000000007670: D89A1100 00004814
	ds_write_b64 v20, v[74:75] offset:6528                     // 000000007678: D89A1980 00004A14
	ds_write_b64 v20, v[76:77] offset:8704                     // 000000007680: D89A2200 00004C14
	ds_write_b64 v20, v[78:79] offset:10880                    // 000000007688: D89A2A80 00004E14
	v_lshrrev_b32_e32 v4, 5, v0                                // 000000007690: 20080085
	v_xor_b32_e32 v5, 1, v4                                    // 000000007694: 2A0A0881
	s_mul_i32 s60, s65, 2                                      // 000000007698: 923C8241
	s_cmp_eq_u32 s88, 0                                        // 00000000769C: BF068058
	s_cselect_b32 s61, 1, 4                                    // 0000000076A0: 853D8481
	s_mul_i32 s60, s61, s60                                    // 0000000076A4: 923C3C3D
	v_readlane_b32 s82, v3, 0                                  // 0000000076A8: D2890052 00010103
	s_lshr_b32 s61, s82, 24                                    // 0000000076B0: 8F3D9852
	s_and_b32 s82, s82, 0xffffff                               // 0000000076B4: 8652FF52 00FFFFFF
	s_mul_i32 s82, s82, s71                                    // 0000000076BC: 92524752
	s_mul_i32 s61, s60, s61                                    // 0000000076C0: 923D3D3C
	s_add_u32 s82, s82, s61                                    // 0000000076C4: 80523D52
	v_mul_lo_u32 v6, v5, s82                                   // 0000000076C8: D2850006 0000A505
	v_readlane_b32 s82, v3, 1                                  // 0000000076D0: D2890052 00010303
	s_lshr_b32 s61, s82, 24                                    // 0000000076D8: 8F3D9852
	s_and_b32 s82, s82, 0xffffff                               // 0000000076DC: 8652FF52 00FFFFFF
	s_mul_i32 s82, s82, s71                                    // 0000000076E4: 92524752
	s_mul_i32 s61, s60, s61                                    // 0000000076E8: 923D3D3C
	s_add_u32 s82, s82, s61                                    // 0000000076EC: 80523D52
	v_mul_lo_u32 v7, v4, s82                                   // 0000000076F0: D2850007 0000A504
	v_add_u32_e32 v52, v6, v7                                  // 0000000076F8: 68680F06
	v_readlane_b32 s82, v3, 2                                  // 0000000076FC: D2890052 00010503
	s_lshr_b32 s61, s82, 24                                    // 000000007704: 8F3D9852
	s_and_b32 s82, s82, 0xffffff                               // 000000007708: 8652FF52 00FFFFFF
	s_mul_i32 s82, s82, s71                                    // 000000007710: 92524752
	s_mul_i32 s61, s60, s61                                    // 000000007714: 923D3D3C
	s_add_u32 s82, s82, s61                                    // 000000007718: 80523D52
	v_mul_lo_u32 v6, v5, s82                                   // 00000000771C: D2850006 0000A505
	v_readlane_b32 s82, v3, 3                                  // 000000007724: D2890052 00010703
	s_lshr_b32 s61, s82, 24                                    // 00000000772C: 8F3D9852
	s_and_b32 s82, s82, 0xffffff                               // 000000007730: 8652FF52 00FFFFFF
	s_mul_i32 s82, s82, s71                                    // 000000007738: 92524752
	s_mul_i32 s61, s60, s61                                    // 00000000773C: 923D3D3C
	s_add_u32 s82, s82, s61                                    // 000000007740: 80523D52
	v_mul_lo_u32 v7, v4, s82                                   // 000000007744: D2850007 0000A504
	v_add_u32_e32 v53, v6, v7                                  // 00000000774C: 686A0F06
	v_readlane_b32 s82, v3, 4                                  // 000000007750: D2890052 00010903
	s_lshr_b32 s61, s82, 24                                    // 000000007758: 8F3D9852
	s_and_b32 s82, s82, 0xffffff                               // 00000000775C: 8652FF52 00FFFFFF
	s_mul_i32 s82, s82, s71                                    // 000000007764: 92524752
	s_mul_i32 s61, s60, s61                                    // 000000007768: 923D3D3C
	s_add_u32 s82, s82, s61                                    // 00000000776C: 80523D52
	v_mul_lo_u32 v6, v5, s82                                   // 000000007770: D2850006 0000A505
	v_readlane_b32 s82, v3, 5                                  // 000000007778: D2890052 00010B03
	s_lshr_b32 s61, s82, 24                                    // 000000007780: 8F3D9852
	s_and_b32 s82, s82, 0xffffff                               // 000000007784: 8652FF52 00FFFFFF
	s_mul_i32 s82, s82, s71                                    // 00000000778C: 92524752
	s_mul_i32 s61, s60, s61                                    // 000000007790: 923D3D3C
	s_add_u32 s82, s82, s61                                    // 000000007794: 80523D52
	v_mul_lo_u32 v7, v4, s82                                   // 000000007798: D2850007 0000A504
	v_add_u32_e32 v54, v6, v7                                  // 0000000077A0: 686C0F06
	v_readlane_b32 s82, v3, 6                                  // 0000000077A4: D2890052 00010D03
	s_lshr_b32 s61, s82, 24                                    // 0000000077AC: 8F3D9852
	s_and_b32 s82, s82, 0xffffff                               // 0000000077B0: 8652FF52 00FFFFFF
	s_mul_i32 s82, s82, s71                                    // 0000000077B8: 92524752
	s_mul_i32 s61, s60, s61                                    // 0000000077BC: 923D3D3C
	s_add_u32 s82, s82, s61                                    // 0000000077C0: 80523D52
	v_mul_lo_u32 v6, v5, s82                                   // 0000000077C4: D2850006 0000A505
	v_readlane_b32 s82, v3, 7                                  // 0000000077CC: D2890052 00010F03
	s_lshr_b32 s61, s82, 24                                    // 0000000077D4: 8F3D9852
	s_and_b32 s82, s82, 0xffffff                               // 0000000077D8: 8652FF52 00FFFFFF
	s_mul_i32 s82, s82, s71                                    // 0000000077E0: 92524752
	s_mul_i32 s61, s60, s61                                    // 0000000077E4: 923D3D3C
	s_add_u32 s82, s82, s61                                    // 0000000077E8: 80523D52
	v_mul_lo_u32 v7, v4, s82                                   // 0000000077EC: D2850007 0000A504
	v_add_u32_e32 v55, v6, v7                                  // 0000000077F4: 686E0F06
	v_readlane_b32 s82, v3, 8                                  // 0000000077F8: D2890052 00011103
	s_lshr_b32 s61, s82, 24                                    // 000000007800: 8F3D9852
	s_and_b32 s82, s82, 0xffffff                               // 000000007804: 8652FF52 00FFFFFF
	s_mul_i32 s82, s82, s71                                    // 00000000780C: 92524752
	s_mul_i32 s61, s60, s61                                    // 000000007810: 923D3D3C
	s_add_u32 s82, s82, s61                                    // 000000007814: 80523D52
	v_mul_lo_u32 v6, v5, s82                                   // 000000007818: D2850006 0000A505
	v_readlane_b32 s82, v3, 9                                  // 000000007820: D2890052 00011303
	s_lshr_b32 s61, s82, 24                                    // 000000007828: 8F3D9852
	s_and_b32 s82, s82, 0xffffff                               // 00000000782C: 8652FF52 00FFFFFF
	s_mul_i32 s82, s82, s71                                    // 000000007834: 92524752
	s_mul_i32 s61, s60, s61                                    // 000000007838: 923D3D3C
	s_add_u32 s82, s82, s61                                    // 00000000783C: 80523D52
	v_mul_lo_u32 v7, v4, s82                                   // 000000007840: D2850007 0000A504
	v_add_u32_e32 v56, v6, v7                                  // 000000007848: 68700F06
	v_readlane_b32 s82, v3, 10                                 // 00000000784C: D2890052 00011503
	s_lshr_b32 s61, s82, 24                                    // 000000007854: 8F3D9852
	s_and_b32 s82, s82, 0xffffff                               // 000000007858: 8652FF52 00FFFFFF
	s_mul_i32 s82, s82, s71                                    // 000000007860: 92524752
	s_mul_i32 s61, s60, s61                                    // 000000007864: 923D3D3C
	s_add_u32 s82, s82, s61                                    // 000000007868: 80523D52
	v_mul_lo_u32 v6, v5, s82                                   // 00000000786C: D2850006 0000A505
	v_readlane_b32 s82, v3, 11                                 // 000000007874: D2890052 00011703
	s_lshr_b32 s61, s82, 24                                    // 00000000787C: 8F3D9852
	s_and_b32 s82, s82, 0xffffff                               // 000000007880: 8652FF52 00FFFFFF
	s_mul_i32 s82, s82, s71                                    // 000000007888: 92524752
	s_mul_i32 s61, s60, s61                                    // 00000000788C: 923D3D3C
	s_add_u32 s82, s82, s61                                    // 000000007890: 80523D52
	v_mul_lo_u32 v7, v4, s82                                   // 000000007894: D2850007 0000A504
	v_add_u32_e32 v57, v6, v7                                  // 00000000789C: 68720F06
	v_readlane_b32 s82, v3, 12                                 // 0000000078A0: D2890052 00011903
	s_lshr_b32 s61, s82, 24                                    // 0000000078A8: 8F3D9852
	s_and_b32 s82, s82, 0xffffff                               // 0000000078AC: 8652FF52 00FFFFFF
	s_mul_i32 s82, s82, s71                                    // 0000000078B4: 92524752
	s_mul_i32 s61, s60, s61                                    // 0000000078B8: 923D3D3C
	s_add_u32 s82, s82, s61                                    // 0000000078BC: 80523D52
	v_mul_lo_u32 v6, v5, s82                                   // 0000000078C0: D2850006 0000A505
	v_readlane_b32 s82, v3, 13                                 // 0000000078C8: D2890052 00011B03
	s_lshr_b32 s61, s82, 24                                    // 0000000078D0: 8F3D9852
	s_and_b32 s82, s82, 0xffffff                               // 0000000078D4: 8652FF52 00FFFFFF
	s_mul_i32 s82, s82, s71                                    // 0000000078DC: 92524752
	s_mul_i32 s61, s60, s61                                    // 0000000078E0: 923D3D3C
	s_add_u32 s82, s82, s61                                    // 0000000078E4: 80523D52
	v_mul_lo_u32 v7, v4, s82                                   // 0000000078E8: D2850007 0000A504
	v_add_u32_e32 v58, v6, v7                                  // 0000000078F0: 68740F06
	v_readlane_b32 s82, v3, 14                                 // 0000000078F4: D2890052 00011D03
	s_lshr_b32 s61, s82, 24                                    // 0000000078FC: 8F3D9852
	s_and_b32 s82, s82, 0xffffff                               // 000000007900: 8652FF52 00FFFFFF
	s_mul_i32 s82, s82, s71                                    // 000000007908: 92524752
	s_mul_i32 s61, s60, s61                                    // 00000000790C: 923D3D3C
	s_add_u32 s82, s82, s61                                    // 000000007910: 80523D52
	v_mul_lo_u32 v6, v5, s82                                   // 000000007914: D2850006 0000A505
	v_readlane_b32 s82, v3, 15                                 // 00000000791C: D2890052 00011F03
	s_lshr_b32 s61, s82, 24                                    // 000000007924: 8F3D9852
	s_and_b32 s82, s82, 0xffffff                               // 000000007928: 8652FF52 00FFFFFF
	s_mul_i32 s82, s82, s71                                    // 000000007930: 92524752
	s_mul_i32 s61, s60, s61                                    // 000000007934: 923D3D3C
	s_add_u32 s82, s82, s61                                    // 000000007938: 80523D52
	v_mul_lo_u32 v7, v4, s82                                   // 00000000793C: D2850007 0000A504
	v_add_u32_e32 v59, v6, v7                                  // 000000007944: 68760F06
	v_readlane_b32 s82, v3, 16                                 // 000000007948: D2890052 00012103
	s_lshr_b32 s61, s82, 24                                    // 000000007950: 8F3D9852
	s_and_b32 s82, s82, 0xffffff                               // 000000007954: 8652FF52 00FFFFFF
	s_mul_i32 s82, s82, s71                                    // 00000000795C: 92524752
	s_mul_i32 s61, s60, s61                                    // 000000007960: 923D3D3C
	s_add_u32 s82, s82, s61                                    // 000000007964: 80523D52
	v_mul_lo_u32 v6, v5, s82                                   // 000000007968: D2850006 0000A505
	v_readlane_b32 s82, v3, 17                                 // 000000007970: D2890052 00012303
	s_lshr_b32 s61, s82, 24                                    // 000000007978: 8F3D9852
	s_and_b32 s82, s82, 0xffffff                               // 00000000797C: 8652FF52 00FFFFFF
	s_mul_i32 s82, s82, s71                                    // 000000007984: 92524752
	s_mul_i32 s61, s60, s61                                    // 000000007988: 923D3D3C
	s_add_u32 s82, s82, s61                                    // 00000000798C: 80523D52
	v_mul_lo_u32 v7, v4, s82                                   // 000000007990: D2850007 0000A504
	v_add_u32_e32 v60, v6, v7                                  // 000000007998: 68780F06
	v_readlane_b32 s82, v3, 18                                 // 00000000799C: D2890052 00012503
	s_lshr_b32 s61, s82, 24                                    // 0000000079A4: 8F3D9852
	s_and_b32 s82, s82, 0xffffff                               // 0000000079A8: 8652FF52 00FFFFFF
	s_mul_i32 s82, s82, s71                                    // 0000000079B0: 92524752
	s_mul_i32 s61, s60, s61                                    // 0000000079B4: 923D3D3C
	s_add_u32 s82, s82, s61                                    // 0000000079B8: 80523D52
	v_mul_lo_u32 v6, v5, s82                                   // 0000000079BC: D2850006 0000A505
	v_readlane_b32 s82, v3, 19                                 // 0000000079C4: D2890052 00012703
	s_lshr_b32 s61, s82, 24                                    // 0000000079CC: 8F3D9852
	s_and_b32 s82, s82, 0xffffff                               // 0000000079D0: 8652FF52 00FFFFFF
	s_mul_i32 s82, s82, s71                                    // 0000000079D8: 92524752
	s_mul_i32 s61, s60, s61                                    // 0000000079DC: 923D3D3C
	s_add_u32 s82, s82, s61                                    // 0000000079E0: 80523D52
	v_mul_lo_u32 v7, v4, s82                                   // 0000000079E4: D2850007 0000A504
	v_add_u32_e32 v61, v6, v7                                  // 0000000079EC: 687A0F06
	v_readlane_b32 s82, v3, 20                                 // 0000000079F0: D2890052 00012903
	s_lshr_b32 s61, s82, 24                                    // 0000000079F8: 8F3D9852
	s_and_b32 s82, s82, 0xffffff                               // 0000000079FC: 8652FF52 00FFFFFF
	s_mul_i32 s82, s82, s71                                    // 000000007A04: 92524752
	s_mul_i32 s61, s60, s61                                    // 000000007A08: 923D3D3C
	s_add_u32 s82, s82, s61                                    // 000000007A0C: 80523D52
	v_mul_lo_u32 v6, v5, s82                                   // 000000007A10: D2850006 0000A505
	v_readlane_b32 s82, v3, 21                                 // 000000007A18: D2890052 00012B03
	s_lshr_b32 s61, s82, 24                                    // 000000007A20: 8F3D9852
	s_and_b32 s82, s82, 0xffffff                               // 000000007A24: 8652FF52 00FFFFFF
	s_mul_i32 s82, s82, s71                                    // 000000007A2C: 92524752
	s_mul_i32 s61, s60, s61                                    // 000000007A30: 923D3D3C
	s_add_u32 s82, s82, s61                                    // 000000007A34: 80523D52
	v_mul_lo_u32 v7, v4, s82                                   // 000000007A38: D2850007 0000A504
	v_add_u32_e32 v62, v6, v7                                  // 000000007A40: 687C0F06
	v_readlane_b32 s82, v3, 22                                 // 000000007A44: D2890052 00012D03
	s_lshr_b32 s61, s82, 24                                    // 000000007A4C: 8F3D9852
	s_and_b32 s82, s82, 0xffffff                               // 000000007A50: 8652FF52 00FFFFFF
	s_mul_i32 s82, s82, s71                                    // 000000007A58: 92524752
	s_mul_i32 s61, s60, s61                                    // 000000007A5C: 923D3D3C
	s_add_u32 s82, s82, s61                                    // 000000007A60: 80523D52
	v_mul_lo_u32 v6, v5, s82                                   // 000000007A64: D2850006 0000A505
	v_readlane_b32 s82, v3, 23                                 // 000000007A6C: D2890052 00012F03
	s_lshr_b32 s61, s82, 24                                    // 000000007A74: 8F3D9852
	s_and_b32 s82, s82, 0xffffff                               // 000000007A78: 8652FF52 00FFFFFF
	s_mul_i32 s82, s82, s71                                    // 000000007A80: 92524752
	s_mul_i32 s61, s60, s61                                    // 000000007A84: 923D3D3C
	s_add_u32 s82, s82, s61                                    // 000000007A88: 80523D52
	v_mul_lo_u32 v7, v4, s82                                   // 000000007A8C: D2850007 0000A504
	v_add_u32_e32 v63, v6, v7                                  // 000000007A94: 687E0F06
	v_and_b32_e32 v4, 31, v0                                   // 000000007A98: 2608009F
	v_lshrrev_b32_e32 v4, 1, v4                                // 000000007A9C: 20080881
	s_cmp_eq_u32 s88, 0                                        // 000000007AA0: BF068058
	s_cselect_b32 s61, 2, 4                                    // 000000007AA4: 853D8482
	v_mul_lo_u32 v4, v4, s61                                   // 000000007AA8: D2850004 00007B04
	v_and_b32_e64 v5, v0, 1                                    // 000000007AB0: D1130005 00010300
	v_add_u32_e32 v4, v4, v5                                   // 000000007AB8: 68080B04
	v_lshlrev_b32_e32 v4, 2, v4                                // 000000007ABC: 24080882
	v_add_u32_e32 v52, v52, v4                                 // 000000007AC0: 68680934
	v_add_u32_e32 v53, v53, v4                                 // 000000007AC4: 686A0935
	v_add_u32_e32 v54, v54, v4                                 // 000000007AC8: 686C0936
	v_add_u32_e32 v55, v55, v4                                 // 000000007ACC: 686E0937
	v_add_u32_e32 v56, v56, v4                                 // 000000007AD0: 68700938
	v_add_u32_e32 v57, v57, v4                                 // 000000007AD4: 68720939
	v_add_u32_e32 v58, v58, v4                                 // 000000007AD8: 6874093A
	v_add_u32_e32 v59, v59, v4                                 // 000000007ADC: 6876093B
	v_add_u32_e32 v60, v60, v4                                 // 000000007AE0: 6878093C
	v_add_u32_e32 v61, v61, v4                                 // 000000007AE4: 687A093D
	v_add_u32_e32 v62, v62, v4                                 // 000000007AE8: 687C093E
	v_add_u32_e32 v63, v63, v4                                 // 000000007AEC: 687E093F
	s_waitcnt lgkmcnt(0)                                       // 000000007AF0: BF8CC07F
	s_barrier                                                  // 000000007AF4: BF8A0000
	ds_read_b32 v68, v21                                       // 000000007AF8: D86C0000 44000015
	ds_read_b32 v69, v21 offset:64                             // 000000007B00: D86C0040 45000015
	ds_read_b32 v70, v21 offset:2176                           // 000000007B08: D86C0880 46000015
	ds_read_b32 v71, v21 offset:2240                           // 000000007B10: D86C08C0 47000015
	ds_read_b32 v72, v21 offset:4352                           // 000000007B18: D86C1100 48000015
	ds_read_b32 v73, v21 offset:4416                           // 000000007B20: D86C1140 49000015
	ds_read_b32 v74, v21 offset:6528                           // 000000007B28: D86C1980 4A000015
	ds_read_b32 v75, v21 offset:6592                           // 000000007B30: D86C19C0 4B000015
	ds_read_b32 v76, v21 offset:8704                           // 000000007B38: D86C2200 4C000015
	ds_read_b32 v77, v21 offset:8768                           // 000000007B40: D86C2240 4D000015
	ds_read_b32 v78, v21 offset:10880                          // 000000007B48: D86C2A80 4E000015
	ds_read_b32 v79, v21 offset:10944                          // 000000007B50: D86C2AC0 4F000015
	s_waitcnt lgkmcnt(0)                                       // 000000007B58: BF8CC07F
	s_mov_b32 s36, -1                                          // 000000007B5C: BEA400C1
	s_mov_b32 s37, -1                                          // 000000007B60: BEA500C1
	v_mov_b32_e32 v7, 0                                        // 000000007B64: 7E0E0280
	s_or_b32 s9, s9, 0x40000                                   // 000000007B68: 8709FF09 00040000
	s_mov_b64 exec, s[36:37]                                   // 000000007B70: BEFE0124
	v_mov_b32_e32 v6, v52                                      // 000000007B74: 7E0C0334
	s_mov_b64 s[60:61], 0                                      // 000000007B78: BEBC0180
	v_readlane_b32 s82, v3, 0                                  // 000000007B7C: D2890052 00010103
	s_and_b32 s82, s82, 0xffffff                               // 000000007B84: 8652FF52 00FFFFFF
	s_cmp_lt_u32 s82, s66                                      // 000000007B8C: BF0A4252
	s_cselect_b32 s20, s36, s60                                // 000000007B90: 85143C24
	v_readlane_b32 s82, v3, 1                                  // 000000007B94: D2890052 00010303
	s_and_b32 s82, s82, 0xffffff                               // 000000007B9C: 8652FF52 00FFFFFF
	s_cmp_lt_u32 s82, s66                                      // 000000007BA4: BF0A4252
	s_cselect_b32 s21, s36, s60                                // 000000007BA8: 85153C24
	s_mov_b64 exec, s[20:21]                                   // 000000007BAC: BEFE0114
	buffer_store_dword v68, v6, s[8:11], 0 offen               // 000000007BB0: E0701000 80024406
	s_mov_b64 exec, s[36:37]                                   // 000000007BB8: BEFE0124
	v_mov_b32_e32 v6, v53                                      // 000000007BBC: 7E0C0335
	s_mov_b64 s[60:61], 0                                      // 000000007BC0: BEBC0180
	v_readlane_b32 s82, v3, 2                                  // 000000007BC4: D2890052 00010503
	s_and_b32 s82, s82, 0xffffff                               // 000000007BCC: 8652FF52 00FFFFFF
	s_cmp_lt_u32 s82, s66                                      // 000000007BD4: BF0A4252
	s_cselect_b32 s20, s36, s60                                // 000000007BD8: 85143C24
	v_readlane_b32 s82, v3, 3                                  // 000000007BDC: D2890052 00010703
	s_and_b32 s82, s82, 0xffffff                               // 000000007BE4: 8652FF52 00FFFFFF
	s_cmp_lt_u32 s82, s66                                      // 000000007BEC: BF0A4252
	s_cselect_b32 s21, s36, s60                                // 000000007BF0: 85153C24
	s_mov_b64 exec, s[20:21]                                   // 000000007BF4: BEFE0114
	buffer_store_dword v69, v6, s[8:11], 0 offen               // 000000007BF8: E0701000 80024506
	s_mov_b64 exec, s[36:37]                                   // 000000007C00: BEFE0124
	v_mov_b32_e32 v6, v54                                      // 000000007C04: 7E0C0336
	s_mov_b64 s[60:61], 0                                      // 000000007C08: BEBC0180
	v_readlane_b32 s82, v3, 4                                  // 000000007C0C: D2890052 00010903
	s_and_b32 s82, s82, 0xffffff                               // 000000007C14: 8652FF52 00FFFFFF
	s_cmp_lt_u32 s82, s66                                      // 000000007C1C: BF0A4252
	s_cselect_b32 s20, s36, s60                                // 000000007C20: 85143C24
	v_readlane_b32 s82, v3, 5                                  // 000000007C24: D2890052 00010B03
	s_and_b32 s82, s82, 0xffffff                               // 000000007C2C: 8652FF52 00FFFFFF
	s_cmp_lt_u32 s82, s66                                      // 000000007C34: BF0A4252
	s_cselect_b32 s21, s36, s60                                // 000000007C38: 85153C24
	s_mov_b64 exec, s[20:21]                                   // 000000007C3C: BEFE0114
	buffer_store_dword v70, v6, s[8:11], 0 offen               // 000000007C40: E0701000 80024606
	s_mov_b64 exec, s[36:37]                                   // 000000007C48: BEFE0124
	v_mov_b32_e32 v6, v55                                      // 000000007C4C: 7E0C0337
	s_mov_b64 s[60:61], 0                                      // 000000007C50: BEBC0180
	v_readlane_b32 s82, v3, 6                                  // 000000007C54: D2890052 00010D03
	s_and_b32 s82, s82, 0xffffff                               // 000000007C5C: 8652FF52 00FFFFFF
	s_cmp_lt_u32 s82, s66                                      // 000000007C64: BF0A4252
	s_cselect_b32 s20, s36, s60                                // 000000007C68: 85143C24
	v_readlane_b32 s82, v3, 7                                  // 000000007C6C: D2890052 00010F03
	s_and_b32 s82, s82, 0xffffff                               // 000000007C74: 8652FF52 00FFFFFF
	s_cmp_lt_u32 s82, s66                                      // 000000007C7C: BF0A4252
	s_cselect_b32 s21, s36, s60                                // 000000007C80: 85153C24
	s_mov_b64 exec, s[20:21]                                   // 000000007C84: BEFE0114
	buffer_store_dword v71, v6, s[8:11], 0 offen               // 000000007C88: E0701000 80024706
	s_mov_b64 exec, s[36:37]                                   // 000000007C90: BEFE0124
	v_mov_b32_e32 v6, v56                                      // 000000007C94: 7E0C0338
	s_mov_b64 s[60:61], 0                                      // 000000007C98: BEBC0180
	v_readlane_b32 s82, v3, 8                                  // 000000007C9C: D2890052 00011103
	s_and_b32 s82, s82, 0xffffff                               // 000000007CA4: 8652FF52 00FFFFFF
	s_cmp_lt_u32 s82, s66                                      // 000000007CAC: BF0A4252
	s_cselect_b32 s20, s36, s60                                // 000000007CB0: 85143C24
	v_readlane_b32 s82, v3, 9                                  // 000000007CB4: D2890052 00011303
	s_and_b32 s82, s82, 0xffffff                               // 000000007CBC: 8652FF52 00FFFFFF
	s_cmp_lt_u32 s82, s66                                      // 000000007CC4: BF0A4252
	s_cselect_b32 s21, s36, s60                                // 000000007CC8: 85153C24
	s_mov_b64 exec, s[20:21]                                   // 000000007CCC: BEFE0114
	buffer_store_dword v72, v6, s[8:11], 0 offen               // 000000007CD0: E0701000 80024806
	s_mov_b64 exec, s[36:37]                                   // 000000007CD8: BEFE0124
	v_mov_b32_e32 v6, v57                                      // 000000007CDC: 7E0C0339
	s_mov_b64 s[60:61], 0                                      // 000000007CE0: BEBC0180
	v_readlane_b32 s82, v3, 10                                 // 000000007CE4: D2890052 00011503
	s_and_b32 s82, s82, 0xffffff                               // 000000007CEC: 8652FF52 00FFFFFF
	s_cmp_lt_u32 s82, s66                                      // 000000007CF4: BF0A4252
	s_cselect_b32 s20, s36, s60                                // 000000007CF8: 85143C24
	v_readlane_b32 s82, v3, 11                                 // 000000007CFC: D2890052 00011703
	s_and_b32 s82, s82, 0xffffff                               // 000000007D04: 8652FF52 00FFFFFF
	s_cmp_lt_u32 s82, s66                                      // 000000007D0C: BF0A4252
	s_cselect_b32 s21, s36, s60                                // 000000007D10: 85153C24
	s_mov_b64 exec, s[20:21]                                   // 000000007D14: BEFE0114
	buffer_store_dword v73, v6, s[8:11], 0 offen               // 000000007D18: E0701000 80024906
	s_mov_b64 exec, s[36:37]                                   // 000000007D20: BEFE0124
	v_mov_b32_e32 v6, v58                                      // 000000007D24: 7E0C033A
	s_mov_b64 s[60:61], 0                                      // 000000007D28: BEBC0180
	v_readlane_b32 s82, v3, 12                                 // 000000007D2C: D2890052 00011903
	s_and_b32 s82, s82, 0xffffff                               // 000000007D34: 8652FF52 00FFFFFF
	s_cmp_lt_u32 s82, s66                                      // 000000007D3C: BF0A4252
	s_cselect_b32 s20, s36, s60                                // 000000007D40: 85143C24
	v_readlane_b32 s82, v3, 13                                 // 000000007D44: D2890052 00011B03
	s_and_b32 s82, s82, 0xffffff                               // 000000007D4C: 8652FF52 00FFFFFF
	s_cmp_lt_u32 s82, s66                                      // 000000007D54: BF0A4252
	s_cselect_b32 s21, s36, s60                                // 000000007D58: 85153C24
	s_mov_b64 exec, s[20:21]                                   // 000000007D5C: BEFE0114
	buffer_store_dword v74, v6, s[8:11], 0 offen               // 000000007D60: E0701000 80024A06
	s_mov_b64 exec, s[36:37]                                   // 000000007D68: BEFE0124
	v_mov_b32_e32 v6, v59                                      // 000000007D6C: 7E0C033B
	s_mov_b64 s[60:61], 0                                      // 000000007D70: BEBC0180
	v_readlane_b32 s82, v3, 14                                 // 000000007D74: D2890052 00011D03
	s_and_b32 s82, s82, 0xffffff                               // 000000007D7C: 8652FF52 00FFFFFF
	s_cmp_lt_u32 s82, s66                                      // 000000007D84: BF0A4252
	s_cselect_b32 s20, s36, s60                                // 000000007D88: 85143C24
	v_readlane_b32 s82, v3, 15                                 // 000000007D8C: D2890052 00011F03
	s_and_b32 s82, s82, 0xffffff                               // 000000007D94: 8652FF52 00FFFFFF
	s_cmp_lt_u32 s82, s66                                      // 000000007D9C: BF0A4252
	s_cselect_b32 s21, s36, s60                                // 000000007DA0: 85153C24
	s_mov_b64 exec, s[20:21]                                   // 000000007DA4: BEFE0114
	buffer_store_dword v75, v6, s[8:11], 0 offen               // 000000007DA8: E0701000 80024B06
	s_mov_b64 exec, s[36:37]                                   // 000000007DB0: BEFE0124
	v_mov_b32_e32 v6, v60                                      // 000000007DB4: 7E0C033C
	s_mov_b64 s[60:61], 0                                      // 000000007DB8: BEBC0180
	v_readlane_b32 s82, v3, 16                                 // 000000007DBC: D2890052 00012103
	s_and_b32 s82, s82, 0xffffff                               // 000000007DC4: 8652FF52 00FFFFFF
	s_cmp_lt_u32 s82, s66                                      // 000000007DCC: BF0A4252
	s_cselect_b32 s20, s36, s60                                // 000000007DD0: 85143C24
	v_readlane_b32 s82, v3, 17                                 // 000000007DD4: D2890052 00012303
	s_and_b32 s82, s82, 0xffffff                               // 000000007DDC: 8652FF52 00FFFFFF
	s_cmp_lt_u32 s82, s66                                      // 000000007DE4: BF0A4252
	s_cselect_b32 s21, s36, s60                                // 000000007DE8: 85153C24
	s_mov_b64 exec, s[20:21]                                   // 000000007DEC: BEFE0114
	buffer_store_dword v76, v6, s[8:11], 0 offen               // 000000007DF0: E0701000 80024C06
	s_mov_b64 exec, s[36:37]                                   // 000000007DF8: BEFE0124
	v_mov_b32_e32 v6, v61                                      // 000000007DFC: 7E0C033D
	s_mov_b64 s[60:61], 0                                      // 000000007E00: BEBC0180
	v_readlane_b32 s82, v3, 18                                 // 000000007E04: D2890052 00012503
	s_and_b32 s82, s82, 0xffffff                               // 000000007E0C: 8652FF52 00FFFFFF
	s_cmp_lt_u32 s82, s66                                      // 000000007E14: BF0A4252
	s_cselect_b32 s20, s36, s60                                // 000000007E18: 85143C24
	v_readlane_b32 s82, v3, 19                                 // 000000007E1C: D2890052 00012703
	s_and_b32 s82, s82, 0xffffff                               // 000000007E24: 8652FF52 00FFFFFF
	s_cmp_lt_u32 s82, s66                                      // 000000007E2C: BF0A4252
	s_cselect_b32 s21, s36, s60                                // 000000007E30: 85153C24
	s_mov_b64 exec, s[20:21]                                   // 000000007E34: BEFE0114
	buffer_store_dword v77, v6, s[8:11], 0 offen               // 000000007E38: E0701000 80024D06
	s_mov_b64 exec, s[36:37]                                   // 000000007E40: BEFE0124
	v_mov_b32_e32 v6, v62                                      // 000000007E44: 7E0C033E
	s_mov_b64 s[60:61], 0                                      // 000000007E48: BEBC0180
	v_readlane_b32 s82, v3, 20                                 // 000000007E4C: D2890052 00012903
	s_and_b32 s82, s82, 0xffffff                               // 000000007E54: 8652FF52 00FFFFFF
	s_cmp_lt_u32 s82, s66                                      // 000000007E5C: BF0A4252
	s_cselect_b32 s20, s36, s60                                // 000000007E60: 85143C24
	v_readlane_b32 s82, v3, 21                                 // 000000007E64: D2890052 00012B03
	s_and_b32 s82, s82, 0xffffff                               // 000000007E6C: 8652FF52 00FFFFFF
	s_cmp_lt_u32 s82, s66                                      // 000000007E74: BF0A4252
	s_cselect_b32 s21, s36, s60                                // 000000007E78: 85153C24
	s_mov_b64 exec, s[20:21]                                   // 000000007E7C: BEFE0114
	buffer_store_dword v78, v6, s[8:11], 0 offen               // 000000007E80: E0701000 80024E06
	s_mov_b64 exec, s[36:37]                                   // 000000007E88: BEFE0124
	v_mov_b32_e32 v6, v63                                      // 000000007E8C: 7E0C033F
	s_mov_b64 s[60:61], 0                                      // 000000007E90: BEBC0180
	v_readlane_b32 s82, v3, 22                                 // 000000007E94: D2890052 00012D03
	s_and_b32 s82, s82, 0xffffff                               // 000000007E9C: 8652FF52 00FFFFFF
	s_cmp_lt_u32 s82, s66                                      // 000000007EA4: BF0A4252
	s_cselect_b32 s20, s36, s60                                // 000000007EA8: 85143C24
	v_readlane_b32 s82, v3, 23                                 // 000000007EAC: D2890052 00012F03
	s_and_b32 s82, s82, 0xffffff                               // 000000007EB4: 8652FF52 00FFFFFF
	s_cmp_lt_u32 s82, s66                                      // 000000007EBC: BF0A4252
	s_cselect_b32 s21, s36, s60                                // 000000007EC0: 85153C24
	s_mov_b64 exec, s[20:21]                                   // 000000007EC4: BEFE0114
	buffer_store_dword v79, v6, s[8:11], 0 offen               // 000000007EC8: E0701000 80024F06
	s_mov_b64 exec, s[36:37]                                   // 000000007ED0: BEFE0124
	s_branch label_1A5B                                        // 000000007ED4: BF820522

0000000000007ed8 <label_1539>:
	ds_write_b64 v20, v[68:69]                                 // 000000007ED8: D89A0000 00004414
	ds_write_b64 v20, v[72:73] offset:2176                     // 000000007EE0: D89A0880 00004814
	ds_write_b64 v20, v[76:77] offset:4352                     // 000000007EE8: D89A1100 00004C14
	ds_write_b64 v20, v[80:81] offset:6528                     // 000000007EF0: D89A1980 00005014
	ds_write_b64 v20, v[84:85] offset:8704                     // 000000007EF8: D89A2200 00005414
	ds_write_b64 v20, v[88:89] offset:10880                    // 000000007F00: D89A2A80 00005814
	v_lshrrev_b32_e32 v4, 5, v0                                // 000000007F08: 20080085
	v_xor_b32_e32 v5, 1, v4                                    // 000000007F0C: 2A0A0881
	s_mul_i32 s60, s65, 2                                      // 000000007F10: 923C8241
	s_cmp_eq_u32 s88, 0                                        // 000000007F14: BF068058
	s_cselect_b32 s61, 1, 4                                    // 000000007F18: 853D8481
	s_mul_i32 s60, s61, s60                                    // 000000007F1C: 923C3C3D
	v_readlane_b32 s82, v3, 0                                  // 000000007F20: D2890052 00010103
	s_lshr_b32 s61, s82, 24                                    // 000000007F28: 8F3D9852
	s_and_b32 s82, s82, 0xffffff                               // 000000007F2C: 8652FF52 00FFFFFF
	s_mul_i32 s82, s82, s71                                    // 000000007F34: 92524752
	s_mul_i32 s61, s60, s61                                    // 000000007F38: 923D3D3C
	s_add_u32 s82, s82, s61                                    // 000000007F3C: 80523D52
	v_mul_lo_u32 v6, v5, s82                                   // 000000007F40: D2850006 0000A505
	v_readlane_b32 s82, v3, 1                                  // 000000007F48: D2890052 00010303
	s_lshr_b32 s61, s82, 24                                    // 000000007F50: 8F3D9852
	s_and_b32 s82, s82, 0xffffff                               // 000000007F54: 8652FF52 00FFFFFF
	s_mul_i32 s82, s82, s71                                    // 000000007F5C: 92524752
	s_mul_i32 s61, s60, s61                                    // 000000007F60: 923D3D3C
	s_add_u32 s82, s82, s61                                    // 000000007F64: 80523D52
	v_mul_lo_u32 v7, v4, s82                                   // 000000007F68: D2850007 0000A504
	v_add_u32_e32 v52, v6, v7                                  // 000000007F70: 68680F06
	v_readlane_b32 s82, v3, 2                                  // 000000007F74: D2890052 00010503
	s_lshr_b32 s61, s82, 24                                    // 000000007F7C: 8F3D9852
	s_and_b32 s82, s82, 0xffffff                               // 000000007F80: 8652FF52 00FFFFFF
	s_mul_i32 s82, s82, s71                                    // 000000007F88: 92524752
	s_mul_i32 s61, s60, s61                                    // 000000007F8C: 923D3D3C
	s_add_u32 s82, s82, s61                                    // 000000007F90: 80523D52
	v_mul_lo_u32 v6, v5, s82                                   // 000000007F94: D2850006 0000A505
	v_readlane_b32 s82, v3, 3                                  // 000000007F9C: D2890052 00010703
	s_lshr_b32 s61, s82, 24                                    // 000000007FA4: 8F3D9852
	s_and_b32 s82, s82, 0xffffff                               // 000000007FA8: 8652FF52 00FFFFFF
	s_mul_i32 s82, s82, s71                                    // 000000007FB0: 92524752
	s_mul_i32 s61, s60, s61                                    // 000000007FB4: 923D3D3C
	s_add_u32 s82, s82, s61                                    // 000000007FB8: 80523D52
	v_mul_lo_u32 v7, v4, s82                                   // 000000007FBC: D2850007 0000A504
	v_add_u32_e32 v53, v6, v7                                  // 000000007FC4: 686A0F06
	v_readlane_b32 s82, v3, 4                                  // 000000007FC8: D2890052 00010903
	s_lshr_b32 s61, s82, 24                                    // 000000007FD0: 8F3D9852
	s_and_b32 s82, s82, 0xffffff                               // 000000007FD4: 8652FF52 00FFFFFF
	s_mul_i32 s82, s82, s71                                    // 000000007FDC: 92524752
	s_mul_i32 s61, s60, s61                                    // 000000007FE0: 923D3D3C
	s_add_u32 s82, s82, s61                                    // 000000007FE4: 80523D52
	v_mul_lo_u32 v6, v5, s82                                   // 000000007FE8: D2850006 0000A505
	v_readlane_b32 s82, v3, 5                                  // 000000007FF0: D2890052 00010B03
	s_lshr_b32 s61, s82, 24                                    // 000000007FF8: 8F3D9852
	s_and_b32 s82, s82, 0xffffff                               // 000000007FFC: 8652FF52 00FFFFFF
	s_mul_i32 s82, s82, s71                                    // 000000008004: 92524752
	s_mul_i32 s61, s60, s61                                    // 000000008008: 923D3D3C
	s_add_u32 s82, s82, s61                                    // 00000000800C: 80523D52
	v_mul_lo_u32 v7, v4, s82                                   // 000000008010: D2850007 0000A504
	v_add_u32_e32 v54, v6, v7                                  // 000000008018: 686C0F06
	v_readlane_b32 s82, v3, 6                                  // 00000000801C: D2890052 00010D03
	s_lshr_b32 s61, s82, 24                                    // 000000008024: 8F3D9852
	s_and_b32 s82, s82, 0xffffff                               // 000000008028: 8652FF52 00FFFFFF
	s_mul_i32 s82, s82, s71                                    // 000000008030: 92524752
	s_mul_i32 s61, s60, s61                                    // 000000008034: 923D3D3C
	s_add_u32 s82, s82, s61                                    // 000000008038: 80523D52
	v_mul_lo_u32 v6, v5, s82                                   // 00000000803C: D2850006 0000A505
	v_readlane_b32 s82, v3, 7                                  // 000000008044: D2890052 00010F03
	s_lshr_b32 s61, s82, 24                                    // 00000000804C: 8F3D9852
	s_and_b32 s82, s82, 0xffffff                               // 000000008050: 8652FF52 00FFFFFF
	s_mul_i32 s82, s82, s71                                    // 000000008058: 92524752
	s_mul_i32 s61, s60, s61                                    // 00000000805C: 923D3D3C
	s_add_u32 s82, s82, s61                                    // 000000008060: 80523D52
	v_mul_lo_u32 v7, v4, s82                                   // 000000008064: D2850007 0000A504
	v_add_u32_e32 v55, v6, v7                                  // 00000000806C: 686E0F06
	v_readlane_b32 s82, v3, 8                                  // 000000008070: D2890052 00011103
	s_lshr_b32 s61, s82, 24                                    // 000000008078: 8F3D9852
	s_and_b32 s82, s82, 0xffffff                               // 00000000807C: 8652FF52 00FFFFFF
	s_mul_i32 s82, s82, s71                                    // 000000008084: 92524752
	s_mul_i32 s61, s60, s61                                    // 000000008088: 923D3D3C
	s_add_u32 s82, s82, s61                                    // 00000000808C: 80523D52
	v_mul_lo_u32 v6, v5, s82                                   // 000000008090: D2850006 0000A505
	v_readlane_b32 s82, v3, 9                                  // 000000008098: D2890052 00011303
	s_lshr_b32 s61, s82, 24                                    // 0000000080A0: 8F3D9852
	s_and_b32 s82, s82, 0xffffff                               // 0000000080A4: 8652FF52 00FFFFFF
	s_mul_i32 s82, s82, s71                                    // 0000000080AC: 92524752
	s_mul_i32 s61, s60, s61                                    // 0000000080B0: 923D3D3C
	s_add_u32 s82, s82, s61                                    // 0000000080B4: 80523D52
	v_mul_lo_u32 v7, v4, s82                                   // 0000000080B8: D2850007 0000A504
	v_add_u32_e32 v56, v6, v7                                  // 0000000080C0: 68700F06
	v_readlane_b32 s82, v3, 10                                 // 0000000080C4: D2890052 00011503
	s_lshr_b32 s61, s82, 24                                    // 0000000080CC: 8F3D9852
	s_and_b32 s82, s82, 0xffffff                               // 0000000080D0: 8652FF52 00FFFFFF
	s_mul_i32 s82, s82, s71                                    // 0000000080D8: 92524752
	s_mul_i32 s61, s60, s61                                    // 0000000080DC: 923D3D3C
	s_add_u32 s82, s82, s61                                    // 0000000080E0: 80523D52
	v_mul_lo_u32 v6, v5, s82                                   // 0000000080E4: D2850006 0000A505
	v_readlane_b32 s82, v3, 11                                 // 0000000080EC: D2890052 00011703
	s_lshr_b32 s61, s82, 24                                    // 0000000080F4: 8F3D9852
	s_and_b32 s82, s82, 0xffffff                               // 0000000080F8: 8652FF52 00FFFFFF
	s_mul_i32 s82, s82, s71                                    // 000000008100: 92524752
	s_mul_i32 s61, s60, s61                                    // 000000008104: 923D3D3C
	s_add_u32 s82, s82, s61                                    // 000000008108: 80523D52
	v_mul_lo_u32 v7, v4, s82                                   // 00000000810C: D2850007 0000A504
	v_add_u32_e32 v57, v6, v7                                  // 000000008114: 68720F06
	v_readlane_b32 s82, v3, 12                                 // 000000008118: D2890052 00011903
	s_lshr_b32 s61, s82, 24                                    // 000000008120: 8F3D9852
	s_and_b32 s82, s82, 0xffffff                               // 000000008124: 8652FF52 00FFFFFF
	s_mul_i32 s82, s82, s71                                    // 00000000812C: 92524752
	s_mul_i32 s61, s60, s61                                    // 000000008130: 923D3D3C
	s_add_u32 s82, s82, s61                                    // 000000008134: 80523D52
	v_mul_lo_u32 v6, v5, s82                                   // 000000008138: D2850006 0000A505
	v_readlane_b32 s82, v3, 13                                 // 000000008140: D2890052 00011B03
	s_lshr_b32 s61, s82, 24                                    // 000000008148: 8F3D9852
	s_and_b32 s82, s82, 0xffffff                               // 00000000814C: 8652FF52 00FFFFFF
	s_mul_i32 s82, s82, s71                                    // 000000008154: 92524752
	s_mul_i32 s61, s60, s61                                    // 000000008158: 923D3D3C
	s_add_u32 s82, s82, s61                                    // 00000000815C: 80523D52
	v_mul_lo_u32 v7, v4, s82                                   // 000000008160: D2850007 0000A504
	v_add_u32_e32 v58, v6, v7                                  // 000000008168: 68740F06
	v_readlane_b32 s82, v3, 14                                 // 00000000816C: D2890052 00011D03
	s_lshr_b32 s61, s82, 24                                    // 000000008174: 8F3D9852
	s_and_b32 s82, s82, 0xffffff                               // 000000008178: 8652FF52 00FFFFFF
	s_mul_i32 s82, s82, s71                                    // 000000008180: 92524752
	s_mul_i32 s61, s60, s61                                    // 000000008184: 923D3D3C
	s_add_u32 s82, s82, s61                                    // 000000008188: 80523D52
	v_mul_lo_u32 v6, v5, s82                                   // 00000000818C: D2850006 0000A505
	v_readlane_b32 s82, v3, 15                                 // 000000008194: D2890052 00011F03
	s_lshr_b32 s61, s82, 24                                    // 00000000819C: 8F3D9852
	s_and_b32 s82, s82, 0xffffff                               // 0000000081A0: 8652FF52 00FFFFFF
	s_mul_i32 s82, s82, s71                                    // 0000000081A8: 92524752
	s_mul_i32 s61, s60, s61                                    // 0000000081AC: 923D3D3C
	s_add_u32 s82, s82, s61                                    // 0000000081B0: 80523D52
	v_mul_lo_u32 v7, v4, s82                                   // 0000000081B4: D2850007 0000A504
	v_add_u32_e32 v59, v6, v7                                  // 0000000081BC: 68760F06
	v_readlane_b32 s82, v3, 16                                 // 0000000081C0: D2890052 00012103
	s_lshr_b32 s61, s82, 24                                    // 0000000081C8: 8F3D9852
	s_and_b32 s82, s82, 0xffffff                               // 0000000081CC: 8652FF52 00FFFFFF
	s_mul_i32 s82, s82, s71                                    // 0000000081D4: 92524752
	s_mul_i32 s61, s60, s61                                    // 0000000081D8: 923D3D3C
	s_add_u32 s82, s82, s61                                    // 0000000081DC: 80523D52
	v_mul_lo_u32 v6, v5, s82                                   // 0000000081E0: D2850006 0000A505
	v_readlane_b32 s82, v3, 17                                 // 0000000081E8: D2890052 00012303
	s_lshr_b32 s61, s82, 24                                    // 0000000081F0: 8F3D9852
	s_and_b32 s82, s82, 0xffffff                               // 0000000081F4: 8652FF52 00FFFFFF
	s_mul_i32 s82, s82, s71                                    // 0000000081FC: 92524752
	s_mul_i32 s61, s60, s61                                    // 000000008200: 923D3D3C
	s_add_u32 s82, s82, s61                                    // 000000008204: 80523D52
	v_mul_lo_u32 v7, v4, s82                                   // 000000008208: D2850007 0000A504
	v_add_u32_e32 v60, v6, v7                                  // 000000008210: 68780F06
	v_readlane_b32 s82, v3, 18                                 // 000000008214: D2890052 00012503
	s_lshr_b32 s61, s82, 24                                    // 00000000821C: 8F3D9852
	s_and_b32 s82, s82, 0xffffff                               // 000000008220: 8652FF52 00FFFFFF
	s_mul_i32 s82, s82, s71                                    // 000000008228: 92524752
	s_mul_i32 s61, s60, s61                                    // 00000000822C: 923D3D3C
	s_add_u32 s82, s82, s61                                    // 000000008230: 80523D52
	v_mul_lo_u32 v6, v5, s82                                   // 000000008234: D2850006 0000A505
	v_readlane_b32 s82, v3, 19                                 // 00000000823C: D2890052 00012703
	s_lshr_b32 s61, s82, 24                                    // 000000008244: 8F3D9852
	s_and_b32 s82, s82, 0xffffff                               // 000000008248: 8652FF52 00FFFFFF
	s_mul_i32 s82, s82, s71                                    // 000000008250: 92524752
	s_mul_i32 s61, s60, s61                                    // 000000008254: 923D3D3C
	s_add_u32 s82, s82, s61                                    // 000000008258: 80523D52
	v_mul_lo_u32 v7, v4, s82                                   // 00000000825C: D2850007 0000A504
	v_add_u32_e32 v61, v6, v7                                  // 000000008264: 687A0F06
	v_readlane_b32 s82, v3, 20                                 // 000000008268: D2890052 00012903
	s_lshr_b32 s61, s82, 24                                    // 000000008270: 8F3D9852
	s_and_b32 s82, s82, 0xffffff                               // 000000008274: 8652FF52 00FFFFFF
	s_mul_i32 s82, s82, s71                                    // 00000000827C: 92524752
	s_mul_i32 s61, s60, s61                                    // 000000008280: 923D3D3C
	s_add_u32 s82, s82, s61                                    // 000000008284: 80523D52
	v_mul_lo_u32 v6, v5, s82                                   // 000000008288: D2850006 0000A505
	v_readlane_b32 s82, v3, 21                                 // 000000008290: D2890052 00012B03
	s_lshr_b32 s61, s82, 24                                    // 000000008298: 8F3D9852
	s_and_b32 s82, s82, 0xffffff                               // 00000000829C: 8652FF52 00FFFFFF
	s_mul_i32 s82, s82, s71                                    // 0000000082A4: 92524752
	s_mul_i32 s61, s60, s61                                    // 0000000082A8: 923D3D3C
	s_add_u32 s82, s82, s61                                    // 0000000082AC: 80523D52
	v_mul_lo_u32 v7, v4, s82                                   // 0000000082B0: D2850007 0000A504
	v_add_u32_e32 v62, v6, v7                                  // 0000000082B8: 687C0F06
	v_readlane_b32 s82, v3, 22                                 // 0000000082BC: D2890052 00012D03
	s_lshr_b32 s61, s82, 24                                    // 0000000082C4: 8F3D9852
	s_and_b32 s82, s82, 0xffffff                               // 0000000082C8: 8652FF52 00FFFFFF
	s_mul_i32 s82, s82, s71                                    // 0000000082D0: 92524752
	s_mul_i32 s61, s60, s61                                    // 0000000082D4: 923D3D3C
	s_add_u32 s82, s82, s61                                    // 0000000082D8: 80523D52
	v_mul_lo_u32 v6, v5, s82                                   // 0000000082DC: D2850006 0000A505
	v_readlane_b32 s82, v3, 23                                 // 0000000082E4: D2890052 00012F03
	s_lshr_b32 s61, s82, 24                                    // 0000000082EC: 8F3D9852
	s_and_b32 s82, s82, 0xffffff                               // 0000000082F0: 8652FF52 00FFFFFF
	s_mul_i32 s82, s82, s71                                    // 0000000082F8: 92524752
	s_mul_i32 s61, s60, s61                                    // 0000000082FC: 923D3D3C
	s_add_u32 s82, s82, s61                                    // 000000008300: 80523D52
	v_mul_lo_u32 v7, v4, s82                                   // 000000008304: D2850007 0000A504
	v_add_u32_e32 v63, v6, v7                                  // 00000000830C: 687E0F06
	v_and_b32_e32 v4, 31, v0                                   // 000000008310: 2608009F
	v_lshrrev_b32_e32 v4, 1, v4                                // 000000008314: 20080881
	s_cmp_eq_u32 s88, 0                                        // 000000008318: BF068058
	s_cselect_b32 s61, 2, 4                                    // 00000000831C: 853D8482
	v_mul_lo_u32 v4, v4, s61                                   // 000000008320: D2850004 00007B04
	v_and_b32_e64 v5, v0, 1                                    // 000000008328: D1130005 00010300
	v_add_u32_e32 v4, v4, v5                                   // 000000008330: 68080B04
	v_lshlrev_b32_e32 v4, 2, v4                                // 000000008334: 24080882
	v_add_u32_e32 v52, v52, v4                                 // 000000008338: 68680934
	v_add_u32_e32 v53, v53, v4                                 // 00000000833C: 686A0935
	v_add_u32_e32 v54, v54, v4                                 // 000000008340: 686C0936
	v_add_u32_e32 v55, v55, v4                                 // 000000008344: 686E0937
	v_add_u32_e32 v56, v56, v4                                 // 000000008348: 68700938
	v_add_u32_e32 v57, v57, v4                                 // 00000000834C: 68720939
	v_add_u32_e32 v58, v58, v4                                 // 000000008350: 6874093A
	v_add_u32_e32 v59, v59, v4                                 // 000000008354: 6876093B
	v_add_u32_e32 v60, v60, v4                                 // 000000008358: 6878093C
	v_add_u32_e32 v61, v61, v4                                 // 00000000835C: 687A093D
	v_add_u32_e32 v62, v62, v4                                 // 000000008360: 687C093E
	v_add_u32_e32 v63, v63, v4                                 // 000000008364: 687E093F
	s_waitcnt lgkmcnt(0)                                       // 000000008368: BF8CC07F
	s_barrier                                                  // 00000000836C: BF8A0000
	ds_read_b32 v68, v21                                       // 000000008370: D86C0000 44000015
	ds_read_b32 v69, v21 offset:64                             // 000000008378: D86C0040 45000015
	ds_read_b32 v72, v21 offset:2176                           // 000000008380: D86C0880 48000015
	ds_read_b32 v73, v21 offset:2240                           // 000000008388: D86C08C0 49000015
	ds_read_b32 v76, v21 offset:4352                           // 000000008390: D86C1100 4C000015
	ds_read_b32 v77, v21 offset:4416                           // 000000008398: D86C1140 4D000015
	ds_read_b32 v80, v21 offset:6528                           // 0000000083A0: D86C1980 50000015
	ds_read_b32 v81, v21 offset:6592                           // 0000000083A8: D86C19C0 51000015
	ds_read_b32 v84, v21 offset:8704                           // 0000000083B0: D86C2200 54000015
	ds_read_b32 v85, v21 offset:8768                           // 0000000083B8: D86C2240 55000015
	ds_read_b32 v88, v21 offset:10880                          // 0000000083C0: D86C2A80 58000015
	ds_read_b32 v89, v21 offset:10944                          // 0000000083C8: D86C2AC0 59000015
	s_waitcnt lgkmcnt(0)                                       // 0000000083D0: BF8CC07F
	s_mov_b32 s36, -1                                          // 0000000083D4: BEA400C1
	s_mov_b32 s37, -1                                          // 0000000083D8: BEA500C1
	v_mov_b32_e32 v7, 0                                        // 0000000083DC: 7E0E0280
	s_mov_b64 exec, s[36:37]                                   // 0000000083E0: BEFE0124
	v_mov_b32_e32 v6, v52                                      // 0000000083E4: 7E0C0334
	s_mov_b64 s[60:61], 0                                      // 0000000083E8: BEBC0180
	v_readlane_b32 s82, v3, 0                                  // 0000000083EC: D2890052 00010103
	s_and_b32 s82, s82, 0xffffff                               // 0000000083F4: 8652FF52 00FFFFFF
	s_cmp_lt_u32 s82, s66                                      // 0000000083FC: BF0A4252
	s_cselect_b32 s20, s36, s60                                // 000000008400: 85143C24
	v_readlane_b32 s82, v3, 1                                  // 000000008404: D2890052 00010303
	s_and_b32 s82, s82, 0xffffff                               // 00000000840C: 8652FF52 00FFFFFF
	s_cmp_lt_u32 s82, s66                                      // 000000008414: BF0A4252
	s_cselect_b32 s21, s36, s60                                // 000000008418: 85153C24
	s_mov_b64 exec, s[20:21]                                   // 00000000841C: BEFE0114
	global_atomic_add_f32 v6, v68, s[8:9]                      // 000000008420: DD348000 00084406
	s_mov_b64 exec, s[36:37]                                   // 000000008428: BEFE0124
	v_mov_b32_e32 v6, v53                                      // 00000000842C: 7E0C0335
	s_mov_b64 s[60:61], 0                                      // 000000008430: BEBC0180
	v_readlane_b32 s82, v3, 2                                  // 000000008434: D2890052 00010503
	s_and_b32 s82, s82, 0xffffff                               // 00000000843C: 8652FF52 00FFFFFF
	s_cmp_lt_u32 s82, s66                                      // 000000008444: BF0A4252
	s_cselect_b32 s20, s36, s60                                // 000000008448: 85143C24
	v_readlane_b32 s82, v3, 3                                  // 00000000844C: D2890052 00010703
	s_and_b32 s82, s82, 0xffffff                               // 000000008454: 8652FF52 00FFFFFF
	s_cmp_lt_u32 s82, s66                                      // 00000000845C: BF0A4252
	s_cselect_b32 s21, s36, s60                                // 000000008460: 85153C24
	s_mov_b64 exec, s[20:21]                                   // 000000008464: BEFE0114
	global_atomic_add_f32 v6, v69, s[8:9]                      // 000000008468: DD348000 00084506
	s_mov_b64 exec, s[36:37]                                   // 000000008470: BEFE0124
	v_mov_b32_e32 v6, v54                                      // 000000008474: 7E0C0336
	s_mov_b64 s[60:61], 0                                      // 000000008478: BEBC0180
	v_readlane_b32 s82, v3, 4                                  // 00000000847C: D2890052 00010903
	s_and_b32 s82, s82, 0xffffff                               // 000000008484: 8652FF52 00FFFFFF
	s_cmp_lt_u32 s82, s66                                      // 00000000848C: BF0A4252
	s_cselect_b32 s20, s36, s60                                // 000000008490: 85143C24
	v_readlane_b32 s82, v3, 5                                  // 000000008494: D2890052 00010B03
	s_and_b32 s82, s82, 0xffffff                               // 00000000849C: 8652FF52 00FFFFFF
	s_cmp_lt_u32 s82, s66                                      // 0000000084A4: BF0A4252
	s_cselect_b32 s21, s36, s60                                // 0000000084A8: 85153C24
	s_mov_b64 exec, s[20:21]                                   // 0000000084AC: BEFE0114
	global_atomic_add_f32 v6, v72, s[8:9]                      // 0000000084B0: DD348000 00084806
	s_mov_b64 exec, s[36:37]                                   // 0000000084B8: BEFE0124
	v_mov_b32_e32 v6, v55                                      // 0000000084BC: 7E0C0337
	s_mov_b64 s[60:61], 0                                      // 0000000084C0: BEBC0180
	v_readlane_b32 s82, v3, 6                                  // 0000000084C4: D2890052 00010D03
	s_and_b32 s82, s82, 0xffffff                               // 0000000084CC: 8652FF52 00FFFFFF
	s_cmp_lt_u32 s82, s66                                      // 0000000084D4: BF0A4252
	s_cselect_b32 s20, s36, s60                                // 0000000084D8: 85143C24
	v_readlane_b32 s82, v3, 7                                  // 0000000084DC: D2890052 00010F03
	s_and_b32 s82, s82, 0xffffff                               // 0000000084E4: 8652FF52 00FFFFFF
	s_cmp_lt_u32 s82, s66                                      // 0000000084EC: BF0A4252
	s_cselect_b32 s21, s36, s60                                // 0000000084F0: 85153C24
	s_mov_b64 exec, s[20:21]                                   // 0000000084F4: BEFE0114
	global_atomic_add_f32 v6, v73, s[8:9]                      // 0000000084F8: DD348000 00084906
	s_mov_b64 exec, s[36:37]                                   // 000000008500: BEFE0124
	v_mov_b32_e32 v6, v56                                      // 000000008504: 7E0C0338
	s_mov_b64 s[60:61], 0                                      // 000000008508: BEBC0180
	v_readlane_b32 s82, v3, 8                                  // 00000000850C: D2890052 00011103
	s_and_b32 s82, s82, 0xffffff                               // 000000008514: 8652FF52 00FFFFFF
	s_cmp_lt_u32 s82, s66                                      // 00000000851C: BF0A4252
	s_cselect_b32 s20, s36, s60                                // 000000008520: 85143C24
	v_readlane_b32 s82, v3, 9                                  // 000000008524: D2890052 00011303
	s_and_b32 s82, s82, 0xffffff                               // 00000000852C: 8652FF52 00FFFFFF
	s_cmp_lt_u32 s82, s66                                      // 000000008534: BF0A4252
	s_cselect_b32 s21, s36, s60                                // 000000008538: 85153C24
	s_mov_b64 exec, s[20:21]                                   // 00000000853C: BEFE0114
	global_atomic_add_f32 v6, v76, s[8:9]                      // 000000008540: DD348000 00084C06
	s_mov_b64 exec, s[36:37]                                   // 000000008548: BEFE0124
	v_mov_b32_e32 v6, v57                                      // 00000000854C: 7E0C0339
	s_mov_b64 s[60:61], 0                                      // 000000008550: BEBC0180
	v_readlane_b32 s82, v3, 10                                 // 000000008554: D2890052 00011503
	s_and_b32 s82, s82, 0xffffff                               // 00000000855C: 8652FF52 00FFFFFF
	s_cmp_lt_u32 s82, s66                                      // 000000008564: BF0A4252
	s_cselect_b32 s20, s36, s60                                // 000000008568: 85143C24
	v_readlane_b32 s82, v3, 11                                 // 00000000856C: D2890052 00011703
	s_and_b32 s82, s82, 0xffffff                               // 000000008574: 8652FF52 00FFFFFF
	s_cmp_lt_u32 s82, s66                                      // 00000000857C: BF0A4252
	s_cselect_b32 s21, s36, s60                                // 000000008580: 85153C24
	s_mov_b64 exec, s[20:21]                                   // 000000008584: BEFE0114
	global_atomic_add_f32 v6, v77, s[8:9]                      // 000000008588: DD348000 00084D06
	s_mov_b64 exec, s[36:37]                                   // 000000008590: BEFE0124
	v_mov_b32_e32 v6, v58                                      // 000000008594: 7E0C033A
	s_mov_b64 s[60:61], 0                                      // 000000008598: BEBC0180
	v_readlane_b32 s82, v3, 12                                 // 00000000859C: D2890052 00011903
	s_and_b32 s82, s82, 0xffffff                               // 0000000085A4: 8652FF52 00FFFFFF
	s_cmp_lt_u32 s82, s66                                      // 0000000085AC: BF0A4252
	s_cselect_b32 s20, s36, s60                                // 0000000085B0: 85143C24
	v_readlane_b32 s82, v3, 13                                 // 0000000085B4: D2890052 00011B03
	s_and_b32 s82, s82, 0xffffff                               // 0000000085BC: 8652FF52 00FFFFFF
	s_cmp_lt_u32 s82, s66                                      // 0000000085C4: BF0A4252
	s_cselect_b32 s21, s36, s60                                // 0000000085C8: 85153C24
	s_mov_b64 exec, s[20:21]                                   // 0000000085CC: BEFE0114
	global_atomic_add_f32 v6, v80, s[8:9]                      // 0000000085D0: DD348000 00085006
	s_mov_b64 exec, s[36:37]                                   // 0000000085D8: BEFE0124
	v_mov_b32_e32 v6, v59                                      // 0000000085DC: 7E0C033B
	s_mov_b64 s[60:61], 0                                      // 0000000085E0: BEBC0180
	v_readlane_b32 s82, v3, 14                                 // 0000000085E4: D2890052 00011D03
	s_and_b32 s82, s82, 0xffffff                               // 0000000085EC: 8652FF52 00FFFFFF
	s_cmp_lt_u32 s82, s66                                      // 0000000085F4: BF0A4252
	s_cselect_b32 s20, s36, s60                                // 0000000085F8: 85143C24
	v_readlane_b32 s82, v3, 15                                 // 0000000085FC: D2890052 00011F03
	s_and_b32 s82, s82, 0xffffff                               // 000000008604: 8652FF52 00FFFFFF
	s_cmp_lt_u32 s82, s66                                      // 00000000860C: BF0A4252
	s_cselect_b32 s21, s36, s60                                // 000000008610: 85153C24
	s_mov_b64 exec, s[20:21]                                   // 000000008614: BEFE0114
	global_atomic_add_f32 v6, v81, s[8:9]                      // 000000008618: DD348000 00085106
	s_mov_b64 exec, s[36:37]                                   // 000000008620: BEFE0124
	v_mov_b32_e32 v6, v60                                      // 000000008624: 7E0C033C
	s_mov_b64 s[60:61], 0                                      // 000000008628: BEBC0180
	v_readlane_b32 s82, v3, 16                                 // 00000000862C: D2890052 00012103
	s_and_b32 s82, s82, 0xffffff                               // 000000008634: 8652FF52 00FFFFFF
	s_cmp_lt_u32 s82, s66                                      // 00000000863C: BF0A4252
	s_cselect_b32 s20, s36, s60                                // 000000008640: 85143C24
	v_readlane_b32 s82, v3, 17                                 // 000000008644: D2890052 00012303
	s_and_b32 s82, s82, 0xffffff                               // 00000000864C: 8652FF52 00FFFFFF
	s_cmp_lt_u32 s82, s66                                      // 000000008654: BF0A4252
	s_cselect_b32 s21, s36, s60                                // 000000008658: 85153C24
	s_mov_b64 exec, s[20:21]                                   // 00000000865C: BEFE0114
	global_atomic_add_f32 v6, v84, s[8:9]                      // 000000008660: DD348000 00085406
	s_mov_b64 exec, s[36:37]                                   // 000000008668: BEFE0124
	v_mov_b32_e32 v6, v61                                      // 00000000866C: 7E0C033D
	s_mov_b64 s[60:61], 0                                      // 000000008670: BEBC0180
	v_readlane_b32 s82, v3, 18                                 // 000000008674: D2890052 00012503
	s_and_b32 s82, s82, 0xffffff                               // 00000000867C: 8652FF52 00FFFFFF
	s_cmp_lt_u32 s82, s66                                      // 000000008684: BF0A4252
	s_cselect_b32 s20, s36, s60                                // 000000008688: 85143C24
	v_readlane_b32 s82, v3, 19                                 // 00000000868C: D2890052 00012703
	s_and_b32 s82, s82, 0xffffff                               // 000000008694: 8652FF52 00FFFFFF
	s_cmp_lt_u32 s82, s66                                      // 00000000869C: BF0A4252
	s_cselect_b32 s21, s36, s60                                // 0000000086A0: 85153C24
	s_mov_b64 exec, s[20:21]                                   // 0000000086A4: BEFE0114
	global_atomic_add_f32 v6, v85, s[8:9]                      // 0000000086A8: DD348000 00085506
	s_mov_b64 exec, s[36:37]                                   // 0000000086B0: BEFE0124
	v_mov_b32_e32 v6, v62                                      // 0000000086B4: 7E0C033E
	s_mov_b64 s[60:61], 0                                      // 0000000086B8: BEBC0180
	v_readlane_b32 s82, v3, 20                                 // 0000000086BC: D2890052 00012903
	s_and_b32 s82, s82, 0xffffff                               // 0000000086C4: 8652FF52 00FFFFFF
	s_cmp_lt_u32 s82, s66                                      // 0000000086CC: BF0A4252
	s_cselect_b32 s20, s36, s60                                // 0000000086D0: 85143C24
	v_readlane_b32 s82, v3, 21                                 // 0000000086D4: D2890052 00012B03
	s_and_b32 s82, s82, 0xffffff                               // 0000000086DC: 8652FF52 00FFFFFF
	s_cmp_lt_u32 s82, s66                                      // 0000000086E4: BF0A4252
	s_cselect_b32 s21, s36, s60                                // 0000000086E8: 85153C24
	s_mov_b64 exec, s[20:21]                                   // 0000000086EC: BEFE0114
	global_atomic_add_f32 v6, v88, s[8:9]                      // 0000000086F0: DD348000 00085806
	s_mov_b64 exec, s[36:37]                                   // 0000000086F8: BEFE0124
	v_mov_b32_e32 v6, v63                                      // 0000000086FC: 7E0C033F
	s_mov_b64 s[60:61], 0                                      // 000000008700: BEBC0180
	v_readlane_b32 s82, v3, 22                                 // 000000008704: D2890052 00012D03
	s_and_b32 s82, s82, 0xffffff                               // 00000000870C: 8652FF52 00FFFFFF
	s_cmp_lt_u32 s82, s66                                      // 000000008714: BF0A4252
	s_cselect_b32 s20, s36, s60                                // 000000008718: 85143C24
	v_readlane_b32 s82, v3, 23                                 // 00000000871C: D2890052 00012F03
	s_and_b32 s82, s82, 0xffffff                               // 000000008724: 8652FF52 00FFFFFF
	s_cmp_lt_u32 s82, s66                                      // 00000000872C: BF0A4252
	s_cselect_b32 s21, s36, s60                                // 000000008730: 85153C24
	s_mov_b64 exec, s[20:21]                                   // 000000008734: BEFE0114
	global_atomic_add_f32 v6, v89, s[8:9]                      // 000000008738: DD348000 00085906
	s_mov_b64 exec, s[36:37]                                   // 000000008740: BEFE0124
	ds_write_b64 v20, v[70:71]                                 // 000000008744: D89A0000 00004614
	ds_write_b64 v20, v[74:75] offset:2176                     // 00000000874C: D89A0880 00004A14
	ds_write_b64 v20, v[78:79] offset:4352                     // 000000008754: D89A1100 00004E14
	ds_write_b64 v20, v[82:83] offset:6528                     // 00000000875C: D89A1980 00005214
	ds_write_b64 v20, v[86:87] offset:8704                     // 000000008764: D89A2200 00005614
	ds_write_b64 v20, v[90:91] offset:10880                    // 00000000876C: D89A2A80 00005A14
	s_waitcnt lgkmcnt(0)                                       // 000000008774: BF8CC07F
	s_barrier                                                  // 000000008778: BF8A0000
	ds_read_b32 v70, v21                                       // 00000000877C: D86C0000 46000015
	ds_read_b32 v71, v21 offset:64                             // 000000008784: D86C0040 47000015
	ds_read_b32 v74, v21 offset:2176                           // 00000000878C: D86C0880 4A000015
	ds_read_b32 v75, v21 offset:2240                           // 000000008794: D86C08C0 4B000015
	ds_read_b32 v78, v21 offset:4352                           // 00000000879C: D86C1100 4E000015
	ds_read_b32 v79, v21 offset:4416                           // 0000000087A4: D86C1140 4F000015
	ds_read_b32 v82, v21 offset:6528                           // 0000000087AC: D86C1980 52000015
	ds_read_b32 v83, v21 offset:6592                           // 0000000087B4: D86C19C0 53000015
	ds_read_b32 v86, v21 offset:8704                           // 0000000087BC: D86C2200 56000015
	ds_read_b32 v87, v21 offset:8768                           // 0000000087C4: D86C2240 57000015
	ds_read_b32 v90, v21 offset:10880                          // 0000000087CC: D86C2A80 5A000015
	ds_read_b32 v91, v21 offset:10944                          // 0000000087D4: D86C2AC0 5B000015
	s_waitcnt lgkmcnt(0)                                       // 0000000087DC: BF8CC07F
	v_mov_b32_e32 v7, 0                                        // 0000000087E0: 7E0E0280
	s_mov_b64 exec, s[36:37]                                   // 0000000087E4: BEFE0124
	v_mov_b32_e32 v6, v52                                      // 0000000087E8: 7E0C0334
	s_mov_b64 s[60:61], 0                                      // 0000000087EC: BEBC0180
	v_readlane_b32 s82, v3, 0                                  // 0000000087F0: D2890052 00010103
	s_and_b32 s82, s82, 0xffffff                               // 0000000087F8: 8652FF52 00FFFFFF
	s_cmp_lt_u32 s82, s66                                      // 000000008800: BF0A4252
	s_cselect_b32 s20, s36, s60                                // 000000008804: 85143C24
	v_readlane_b32 s82, v3, 1                                  // 000000008808: D2890052 00010303
	s_and_b32 s82, s82, 0xffffff                               // 000000008810: 8652FF52 00FFFFFF
	s_cmp_lt_u32 s82, s66                                      // 000000008818: BF0A4252
	s_cselect_b32 s21, s36, s60                                // 00000000881C: 85153C24
	s_mov_b64 exec, s[20:21]                                   // 000000008820: BEFE0114
	global_atomic_add_f32 v6, v70, s[8:9] offset:8             // 000000008824: DD348008 00084606
	s_mov_b64 exec, s[36:37]                                   // 00000000882C: BEFE0124
	v_mov_b32_e32 v6, v53                                      // 000000008830: 7E0C0335
	s_mov_b64 s[60:61], 0                                      // 000000008834: BEBC0180
	v_readlane_b32 s82, v3, 2                                  // 000000008838: D2890052 00010503
	s_and_b32 s82, s82, 0xffffff                               // 000000008840: 8652FF52 00FFFFFF
	s_cmp_lt_u32 s82, s66                                      // 000000008848: BF0A4252
	s_cselect_b32 s20, s36, s60                                // 00000000884C: 85143C24
	v_readlane_b32 s82, v3, 3                                  // 000000008850: D2890052 00010703
	s_and_b32 s82, s82, 0xffffff                               // 000000008858: 8652FF52 00FFFFFF
	s_cmp_lt_u32 s82, s66                                      // 000000008860: BF0A4252
	s_cselect_b32 s21, s36, s60                                // 000000008864: 85153C24
	s_mov_b64 exec, s[20:21]                                   // 000000008868: BEFE0114
	global_atomic_add_f32 v6, v71, s[8:9] offset:8             // 00000000886C: DD348008 00084706
	s_mov_b64 exec, s[36:37]                                   // 000000008874: BEFE0124
	v_mov_b32_e32 v6, v54                                      // 000000008878: 7E0C0336
	s_mov_b64 s[60:61], 0                                      // 00000000887C: BEBC0180
	v_readlane_b32 s82, v3, 4                                  // 000000008880: D2890052 00010903
	s_and_b32 s82, s82, 0xffffff                               // 000000008888: 8652FF52 00FFFFFF
	s_cmp_lt_u32 s82, s66                                      // 000000008890: BF0A4252
	s_cselect_b32 s20, s36, s60                                // 000000008894: 85143C24
	v_readlane_b32 s82, v3, 5                                  // 000000008898: D2890052 00010B03
	s_and_b32 s82, s82, 0xffffff                               // 0000000088A0: 8652FF52 00FFFFFF
	s_cmp_lt_u32 s82, s66                                      // 0000000088A8: BF0A4252
	s_cselect_b32 s21, s36, s60                                // 0000000088AC: 85153C24
	s_mov_b64 exec, s[20:21]                                   // 0000000088B0: BEFE0114
	global_atomic_add_f32 v6, v74, s[8:9] offset:8             // 0000000088B4: DD348008 00084A06
	s_mov_b64 exec, s[36:37]                                   // 0000000088BC: BEFE0124
	v_mov_b32_e32 v6, v55                                      // 0000000088C0: 7E0C0337
	s_mov_b64 s[60:61], 0                                      // 0000000088C4: BEBC0180
	v_readlane_b32 s82, v3, 6                                  // 0000000088C8: D2890052 00010D03
	s_and_b32 s82, s82, 0xffffff                               // 0000000088D0: 8652FF52 00FFFFFF
	s_cmp_lt_u32 s82, s66                                      // 0000000088D8: BF0A4252
	s_cselect_b32 s20, s36, s60                                // 0000000088DC: 85143C24
	v_readlane_b32 s82, v3, 7                                  // 0000000088E0: D2890052 00010F03
	s_and_b32 s82, s82, 0xffffff                               // 0000000088E8: 8652FF52 00FFFFFF
	s_cmp_lt_u32 s82, s66                                      // 0000000088F0: BF0A4252
	s_cselect_b32 s21, s36, s60                                // 0000000088F4: 85153C24
	s_mov_b64 exec, s[20:21]                                   // 0000000088F8: BEFE0114
	global_atomic_add_f32 v6, v75, s[8:9] offset:8             // 0000000088FC: DD348008 00084B06
	s_mov_b64 exec, s[36:37]                                   // 000000008904: BEFE0124
	v_mov_b32_e32 v6, v56                                      // 000000008908: 7E0C0338
	s_mov_b64 s[60:61], 0                                      // 00000000890C: BEBC0180
	v_readlane_b32 s82, v3, 8                                  // 000000008910: D2890052 00011103
	s_and_b32 s82, s82, 0xffffff                               // 000000008918: 8652FF52 00FFFFFF
	s_cmp_lt_u32 s82, s66                                      // 000000008920: BF0A4252
	s_cselect_b32 s20, s36, s60                                // 000000008924: 85143C24
	v_readlane_b32 s82, v3, 9                                  // 000000008928: D2890052 00011303
	s_and_b32 s82, s82, 0xffffff                               // 000000008930: 8652FF52 00FFFFFF
	s_cmp_lt_u32 s82, s66                                      // 000000008938: BF0A4252
	s_cselect_b32 s21, s36, s60                                // 00000000893C: 85153C24
	s_mov_b64 exec, s[20:21]                                   // 000000008940: BEFE0114
	global_atomic_add_f32 v6, v78, s[8:9] offset:8             // 000000008944: DD348008 00084E06
	s_mov_b64 exec, s[36:37]                                   // 00000000894C: BEFE0124
	v_mov_b32_e32 v6, v57                                      // 000000008950: 7E0C0339
	s_mov_b64 s[60:61], 0                                      // 000000008954: BEBC0180
	v_readlane_b32 s82, v3, 10                                 // 000000008958: D2890052 00011503
	s_and_b32 s82, s82, 0xffffff                               // 000000008960: 8652FF52 00FFFFFF
	s_cmp_lt_u32 s82, s66                                      // 000000008968: BF0A4252
	s_cselect_b32 s20, s36, s60                                // 00000000896C: 85143C24
	v_readlane_b32 s82, v3, 11                                 // 000000008970: D2890052 00011703
	s_and_b32 s82, s82, 0xffffff                               // 000000008978: 8652FF52 00FFFFFF
	s_cmp_lt_u32 s82, s66                                      // 000000008980: BF0A4252
	s_cselect_b32 s21, s36, s60                                // 000000008984: 85153C24
	s_mov_b64 exec, s[20:21]                                   // 000000008988: BEFE0114
	global_atomic_add_f32 v6, v79, s[8:9] offset:8             // 00000000898C: DD348008 00084F06
	s_mov_b64 exec, s[36:37]                                   // 000000008994: BEFE0124
	v_mov_b32_e32 v6, v58                                      // 000000008998: 7E0C033A
	s_mov_b64 s[60:61], 0                                      // 00000000899C: BEBC0180
	v_readlane_b32 s82, v3, 12                                 // 0000000089A0: D2890052 00011903
	s_and_b32 s82, s82, 0xffffff                               // 0000000089A8: 8652FF52 00FFFFFF
	s_cmp_lt_u32 s82, s66                                      // 0000000089B0: BF0A4252
	s_cselect_b32 s20, s36, s60                                // 0000000089B4: 85143C24
	v_readlane_b32 s82, v3, 13                                 // 0000000089B8: D2890052 00011B03
	s_and_b32 s82, s82, 0xffffff                               // 0000000089C0: 8652FF52 00FFFFFF
	s_cmp_lt_u32 s82, s66                                      // 0000000089C8: BF0A4252
	s_cselect_b32 s21, s36, s60                                // 0000000089CC: 85153C24
	s_mov_b64 exec, s[20:21]                                   // 0000000089D0: BEFE0114
	global_atomic_add_f32 v6, v82, s[8:9] offset:8             // 0000000089D4: DD348008 00085206
	s_mov_b64 exec, s[36:37]                                   // 0000000089DC: BEFE0124
	v_mov_b32_e32 v6, v59                                      // 0000000089E0: 7E0C033B
	s_mov_b64 s[60:61], 0                                      // 0000000089E4: BEBC0180
	v_readlane_b32 s82, v3, 14                                 // 0000000089E8: D2890052 00011D03
	s_and_b32 s82, s82, 0xffffff                               // 0000000089F0: 8652FF52 00FFFFFF
	s_cmp_lt_u32 s82, s66                                      // 0000000089F8: BF0A4252
	s_cselect_b32 s20, s36, s60                                // 0000000089FC: 85143C24
	v_readlane_b32 s82, v3, 15                                 // 000000008A00: D2890052 00011F03
	s_and_b32 s82, s82, 0xffffff                               // 000000008A08: 8652FF52 00FFFFFF
	s_cmp_lt_u32 s82, s66                                      // 000000008A10: BF0A4252
	s_cselect_b32 s21, s36, s60                                // 000000008A14: 85153C24
	s_mov_b64 exec, s[20:21]                                   // 000000008A18: BEFE0114
	global_atomic_add_f32 v6, v83, s[8:9] offset:8             // 000000008A1C: DD348008 00085306
	s_mov_b64 exec, s[36:37]                                   // 000000008A24: BEFE0124
	v_mov_b32_e32 v6, v60                                      // 000000008A28: 7E0C033C
	s_mov_b64 s[60:61], 0                                      // 000000008A2C: BEBC0180
	v_readlane_b32 s82, v3, 16                                 // 000000008A30: D2890052 00012103
	s_and_b32 s82, s82, 0xffffff                               // 000000008A38: 8652FF52 00FFFFFF
	s_cmp_lt_u32 s82, s66                                      // 000000008A40: BF0A4252
	s_cselect_b32 s20, s36, s60                                // 000000008A44: 85143C24
	v_readlane_b32 s82, v3, 17                                 // 000000008A48: D2890052 00012303
	s_and_b32 s82, s82, 0xffffff                               // 000000008A50: 8652FF52 00FFFFFF
	s_cmp_lt_u32 s82, s66                                      // 000000008A58: BF0A4252
	s_cselect_b32 s21, s36, s60                                // 000000008A5C: 85153C24
	s_mov_b64 exec, s[20:21]                                   // 000000008A60: BEFE0114
	global_atomic_add_f32 v6, v86, s[8:9] offset:8             // 000000008A64: DD348008 00085606
	s_mov_b64 exec, s[36:37]                                   // 000000008A6C: BEFE0124
	v_mov_b32_e32 v6, v61                                      // 000000008A70: 7E0C033D
	s_mov_b64 s[60:61], 0                                      // 000000008A74: BEBC0180
	v_readlane_b32 s82, v3, 18                                 // 000000008A78: D2890052 00012503
	s_and_b32 s82, s82, 0xffffff                               // 000000008A80: 8652FF52 00FFFFFF
	s_cmp_lt_u32 s82, s66                                      // 000000008A88: BF0A4252
	s_cselect_b32 s20, s36, s60                                // 000000008A8C: 85143C24
	v_readlane_b32 s82, v3, 19                                 // 000000008A90: D2890052 00012703
	s_and_b32 s82, s82, 0xffffff                               // 000000008A98: 8652FF52 00FFFFFF
	s_cmp_lt_u32 s82, s66                                      // 000000008AA0: BF0A4252
	s_cselect_b32 s21, s36, s60                                // 000000008AA4: 85153C24
	s_mov_b64 exec, s[20:21]                                   // 000000008AA8: BEFE0114
	global_atomic_add_f32 v6, v87, s[8:9] offset:8             // 000000008AAC: DD348008 00085706
	s_mov_b64 exec, s[36:37]                                   // 000000008AB4: BEFE0124
	v_mov_b32_e32 v6, v62                                      // 000000008AB8: 7E0C033E
	s_mov_b64 s[60:61], 0                                      // 000000008ABC: BEBC0180
	v_readlane_b32 s82, v3, 20                                 // 000000008AC0: D2890052 00012903
	s_and_b32 s82, s82, 0xffffff                               // 000000008AC8: 8652FF52 00FFFFFF
	s_cmp_lt_u32 s82, s66                                      // 000000008AD0: BF0A4252
	s_cselect_b32 s20, s36, s60                                // 000000008AD4: 85143C24
	v_readlane_b32 s82, v3, 21                                 // 000000008AD8: D2890052 00012B03
	s_and_b32 s82, s82, 0xffffff                               // 000000008AE0: 8652FF52 00FFFFFF
	s_cmp_lt_u32 s82, s66                                      // 000000008AE8: BF0A4252
	s_cselect_b32 s21, s36, s60                                // 000000008AEC: 85153C24
	s_mov_b64 exec, s[20:21]                                   // 000000008AF0: BEFE0114
	global_atomic_add_f32 v6, v90, s[8:9] offset:8             // 000000008AF4: DD348008 00085A06
	s_mov_b64 exec, s[36:37]                                   // 000000008AFC: BEFE0124
	v_mov_b32_e32 v6, v63                                      // 000000008B00: 7E0C033F
	s_mov_b64 s[60:61], 0                                      // 000000008B04: BEBC0180
	v_readlane_b32 s82, v3, 22                                 // 000000008B08: D2890052 00012D03
	s_and_b32 s82, s82, 0xffffff                               // 000000008B10: 8652FF52 00FFFFFF
	s_cmp_lt_u32 s82, s66                                      // 000000008B18: BF0A4252
	s_cselect_b32 s20, s36, s60                                // 000000008B1C: 85143C24
	v_readlane_b32 s82, v3, 23                                 // 000000008B20: D2890052 00012F03
	s_and_b32 s82, s82, 0xffffff                               // 000000008B28: 8652FF52 00FFFFFF
	s_cmp_lt_u32 s82, s66                                      // 000000008B30: BF0A4252
	s_cselect_b32 s21, s36, s60                                // 000000008B34: 85153C24
	s_mov_b64 exec, s[20:21]                                   // 000000008B38: BEFE0114
	global_atomic_add_f32 v6, v91, s[8:9] offset:8             // 000000008B3C: DD348008 00085B06
	s_mov_b64 exec, s[36:37]                                   // 000000008B44: BEFE0124
	ds_write_b64 v20, v[92:93]                                 // 000000008B48: D89A0000 00005C14
	ds_write_b64 v20, v[96:97] offset:2176                     // 000000008B50: D89A0880 00006014
	ds_write_b64 v20, v[100:101] offset:4352                   // 000000008B58: D89A1100 00006414
	ds_write_b64 v20, v[104:105] offset:6528                   // 000000008B60: D89A1980 00006814
	ds_write_b64 v20, v[108:109] offset:8704                   // 000000008B68: D89A2200 00006C14
	ds_write_b64 v20, v[112:113] offset:10880                  // 000000008B70: D89A2A80 00007014
	s_waitcnt lgkmcnt(0)                                       // 000000008B78: BF8CC07F
	s_barrier                                                  // 000000008B7C: BF8A0000
	ds_read_b32 v92, v21                                       // 000000008B80: D86C0000 5C000015
	ds_read_b32 v93, v21 offset:64                             // 000000008B88: D86C0040 5D000015
	ds_read_b32 v96, v21 offset:2176                           // 000000008B90: D86C0880 60000015
	ds_read_b32 v97, v21 offset:2240                           // 000000008B98: D86C08C0 61000015
	ds_read_b32 v100, v21 offset:4352                          // 000000008BA0: D86C1100 64000015
	ds_read_b32 v101, v21 offset:4416                          // 000000008BA8: D86C1140 65000015
	ds_read_b32 v104, v21 offset:6528                          // 000000008BB0: D86C1980 68000015
	ds_read_b32 v105, v21 offset:6592                          // 000000008BB8: D86C19C0 69000015
	ds_read_b32 v108, v21 offset:8704                          // 000000008BC0: D86C2200 6C000015
	ds_read_b32 v109, v21 offset:8768                          // 000000008BC8: D86C2240 6D000015
	ds_read_b32 v112, v21 offset:10880                         // 000000008BD0: D86C2A80 70000015
	ds_read_b32 v113, v21 offset:10944                         // 000000008BD8: D86C2AC0 71000015
	s_mul_i32 s60, s65, 4                                      // 000000008BE0: 923C8441
	s_add_u32 s8, s60, s8                                      // 000000008BE4: 8008083C
	s_addc_u32 s9, 0, s9                                       // 000000008BE8: 82090980
	s_waitcnt lgkmcnt(0)                                       // 000000008BEC: BF8CC07F
	v_mov_b32_e32 v7, 0                                        // 000000008BF0: 7E0E0280
	s_mov_b64 exec, s[36:37]                                   // 000000008BF4: BEFE0124
	v_mov_b32_e32 v6, v52                                      // 000000008BF8: 7E0C0334
	s_mov_b64 s[60:61], 0                                      // 000000008BFC: BEBC0180
	v_readlane_b32 s82, v3, 0                                  // 000000008C00: D2890052 00010103
	s_and_b32 s82, s82, 0xffffff                               // 000000008C08: 8652FF52 00FFFFFF
	s_cmp_lt_u32 s82, s66                                      // 000000008C10: BF0A4252
	s_cselect_b32 s20, s36, s60                                // 000000008C14: 85143C24
	v_readlane_b32 s82, v3, 1                                  // 000000008C18: D2890052 00010303
	s_and_b32 s82, s82, 0xffffff                               // 000000008C20: 8652FF52 00FFFFFF
	s_cmp_lt_u32 s82, s66                                      // 000000008C28: BF0A4252
	s_cselect_b32 s21, s36, s60                                // 000000008C2C: 85153C24
	s_mov_b64 exec, s[20:21]                                   // 000000008C30: BEFE0114
	global_atomic_add_f32 v6, v92, s[8:9]                      // 000000008C34: DD348000 00085C06
	s_mov_b64 exec, s[36:37]                                   // 000000008C3C: BEFE0124
	v_mov_b32_e32 v6, v53                                      // 000000008C40: 7E0C0335
	s_mov_b64 s[60:61], 0                                      // 000000008C44: BEBC0180
	v_readlane_b32 s82, v3, 2                                  // 000000008C48: D2890052 00010503
	s_and_b32 s82, s82, 0xffffff                               // 000000008C50: 8652FF52 00FFFFFF
	s_cmp_lt_u32 s82, s66                                      // 000000008C58: BF0A4252
	s_cselect_b32 s20, s36, s60                                // 000000008C5C: 85143C24
	v_readlane_b32 s82, v3, 3                                  // 000000008C60: D2890052 00010703
	s_and_b32 s82, s82, 0xffffff                               // 000000008C68: 8652FF52 00FFFFFF
	s_cmp_lt_u32 s82, s66                                      // 000000008C70: BF0A4252
	s_cselect_b32 s21, s36, s60                                // 000000008C74: 85153C24
	s_mov_b64 exec, s[20:21]                                   // 000000008C78: BEFE0114
	global_atomic_add_f32 v6, v93, s[8:9]                      // 000000008C7C: DD348000 00085D06
	s_mov_b64 exec, s[36:37]                                   // 000000008C84: BEFE0124
	v_mov_b32_e32 v6, v54                                      // 000000008C88: 7E0C0336
	s_mov_b64 s[60:61], 0                                      // 000000008C8C: BEBC0180
	v_readlane_b32 s82, v3, 4                                  // 000000008C90: D2890052 00010903
	s_and_b32 s82, s82, 0xffffff                               // 000000008C98: 8652FF52 00FFFFFF
	s_cmp_lt_u32 s82, s66                                      // 000000008CA0: BF0A4252
	s_cselect_b32 s20, s36, s60                                // 000000008CA4: 85143C24
	v_readlane_b32 s82, v3, 5                                  // 000000008CA8: D2890052 00010B03
	s_and_b32 s82, s82, 0xffffff                               // 000000008CB0: 8652FF52 00FFFFFF
	s_cmp_lt_u32 s82, s66                                      // 000000008CB8: BF0A4252
	s_cselect_b32 s21, s36, s60                                // 000000008CBC: 85153C24
	s_mov_b64 exec, s[20:21]                                   // 000000008CC0: BEFE0114
	global_atomic_add_f32 v6, v96, s[8:9]                      // 000000008CC4: DD348000 00086006
	s_mov_b64 exec, s[36:37]                                   // 000000008CCC: BEFE0124
	v_mov_b32_e32 v6, v55                                      // 000000008CD0: 7E0C0337
	s_mov_b64 s[60:61], 0                                      // 000000008CD4: BEBC0180
	v_readlane_b32 s82, v3, 6                                  // 000000008CD8: D2890052 00010D03
	s_and_b32 s82, s82, 0xffffff                               // 000000008CE0: 8652FF52 00FFFFFF
	s_cmp_lt_u32 s82, s66                                      // 000000008CE8: BF0A4252
	s_cselect_b32 s20, s36, s60                                // 000000008CEC: 85143C24
	v_readlane_b32 s82, v3, 7                                  // 000000008CF0: D2890052 00010F03
	s_and_b32 s82, s82, 0xffffff                               // 000000008CF8: 8652FF52 00FFFFFF
	s_cmp_lt_u32 s82, s66                                      // 000000008D00: BF0A4252
	s_cselect_b32 s21, s36, s60                                // 000000008D04: 85153C24
	s_mov_b64 exec, s[20:21]                                   // 000000008D08: BEFE0114
	global_atomic_add_f32 v6, v97, s[8:9]                      // 000000008D0C: DD348000 00086106
	s_mov_b64 exec, s[36:37]                                   // 000000008D14: BEFE0124
	v_mov_b32_e32 v6, v56                                      // 000000008D18: 7E0C0338
	s_mov_b64 s[60:61], 0                                      // 000000008D1C: BEBC0180
	v_readlane_b32 s82, v3, 8                                  // 000000008D20: D2890052 00011103
	s_and_b32 s82, s82, 0xffffff                               // 000000008D28: 8652FF52 00FFFFFF
	s_cmp_lt_u32 s82, s66                                      // 000000008D30: BF0A4252
	s_cselect_b32 s20, s36, s60                                // 000000008D34: 85143C24
	v_readlane_b32 s82, v3, 9                                  // 000000008D38: D2890052 00011303
	s_and_b32 s82, s82, 0xffffff                               // 000000008D40: 8652FF52 00FFFFFF
	s_cmp_lt_u32 s82, s66                                      // 000000008D48: BF0A4252
	s_cselect_b32 s21, s36, s60                                // 000000008D4C: 85153C24
	s_mov_b64 exec, s[20:21]                                   // 000000008D50: BEFE0114
	global_atomic_add_f32 v6, v100, s[8:9]                     // 000000008D54: DD348000 00086406
	s_mov_b64 exec, s[36:37]                                   // 000000008D5C: BEFE0124
	v_mov_b32_e32 v6, v57                                      // 000000008D60: 7E0C0339
	s_mov_b64 s[60:61], 0                                      // 000000008D64: BEBC0180
	v_readlane_b32 s82, v3, 10                                 // 000000008D68: D2890052 00011503
	s_and_b32 s82, s82, 0xffffff                               // 000000008D70: 8652FF52 00FFFFFF
	s_cmp_lt_u32 s82, s66                                      // 000000008D78: BF0A4252
	s_cselect_b32 s20, s36, s60                                // 000000008D7C: 85143C24
	v_readlane_b32 s82, v3, 11                                 // 000000008D80: D2890052 00011703
	s_and_b32 s82, s82, 0xffffff                               // 000000008D88: 8652FF52 00FFFFFF
	s_cmp_lt_u32 s82, s66                                      // 000000008D90: BF0A4252
	s_cselect_b32 s21, s36, s60                                // 000000008D94: 85153C24
	s_mov_b64 exec, s[20:21]                                   // 000000008D98: BEFE0114
	global_atomic_add_f32 v6, v101, s[8:9]                     // 000000008D9C: DD348000 00086506
	s_mov_b64 exec, s[36:37]                                   // 000000008DA4: BEFE0124
	v_mov_b32_e32 v6, v58                                      // 000000008DA8: 7E0C033A
	s_mov_b64 s[60:61], 0                                      // 000000008DAC: BEBC0180
	v_readlane_b32 s82, v3, 12                                 // 000000008DB0: D2890052 00011903
	s_and_b32 s82, s82, 0xffffff                               // 000000008DB8: 8652FF52 00FFFFFF
	s_cmp_lt_u32 s82, s66                                      // 000000008DC0: BF0A4252
	s_cselect_b32 s20, s36, s60                                // 000000008DC4: 85143C24
	v_readlane_b32 s82, v3, 13                                 // 000000008DC8: D2890052 00011B03
	s_and_b32 s82, s82, 0xffffff                               // 000000008DD0: 8652FF52 00FFFFFF
	s_cmp_lt_u32 s82, s66                                      // 000000008DD8: BF0A4252
	s_cselect_b32 s21, s36, s60                                // 000000008DDC: 85153C24
	s_mov_b64 exec, s[20:21]                                   // 000000008DE0: BEFE0114
	global_atomic_add_f32 v6, v104, s[8:9]                     // 000000008DE4: DD348000 00086806
	s_mov_b64 exec, s[36:37]                                   // 000000008DEC: BEFE0124
	v_mov_b32_e32 v6, v59                                      // 000000008DF0: 7E0C033B
	s_mov_b64 s[60:61], 0                                      // 000000008DF4: BEBC0180
	v_readlane_b32 s82, v3, 14                                 // 000000008DF8: D2890052 00011D03
	s_and_b32 s82, s82, 0xffffff                               // 000000008E00: 8652FF52 00FFFFFF
	s_cmp_lt_u32 s82, s66                                      // 000000008E08: BF0A4252
	s_cselect_b32 s20, s36, s60                                // 000000008E0C: 85143C24
	v_readlane_b32 s82, v3, 15                                 // 000000008E10: D2890052 00011F03
	s_and_b32 s82, s82, 0xffffff                               // 000000008E18: 8652FF52 00FFFFFF
	s_cmp_lt_u32 s82, s66                                      // 000000008E20: BF0A4252
	s_cselect_b32 s21, s36, s60                                // 000000008E24: 85153C24
	s_mov_b64 exec, s[20:21]                                   // 000000008E28: BEFE0114
	global_atomic_add_f32 v6, v105, s[8:9]                     // 000000008E2C: DD348000 00086906
	s_mov_b64 exec, s[36:37]                                   // 000000008E34: BEFE0124
	v_mov_b32_e32 v6, v60                                      // 000000008E38: 7E0C033C
	s_mov_b64 s[60:61], 0                                      // 000000008E3C: BEBC0180
	v_readlane_b32 s82, v3, 16                                 // 000000008E40: D2890052 00012103
	s_and_b32 s82, s82, 0xffffff                               // 000000008E48: 8652FF52 00FFFFFF
	s_cmp_lt_u32 s82, s66                                      // 000000008E50: BF0A4252
	s_cselect_b32 s20, s36, s60                                // 000000008E54: 85143C24
	v_readlane_b32 s82, v3, 17                                 // 000000008E58: D2890052 00012303
	s_and_b32 s82, s82, 0xffffff                               // 000000008E60: 8652FF52 00FFFFFF
	s_cmp_lt_u32 s82, s66                                      // 000000008E68: BF0A4252
	s_cselect_b32 s21, s36, s60                                // 000000008E6C: 85153C24
	s_mov_b64 exec, s[20:21]                                   // 000000008E70: BEFE0114
	global_atomic_add_f32 v6, v108, s[8:9]                     // 000000008E74: DD348000 00086C06
	s_mov_b64 exec, s[36:37]                                   // 000000008E7C: BEFE0124
	v_mov_b32_e32 v6, v61                                      // 000000008E80: 7E0C033D
	s_mov_b64 s[60:61], 0                                      // 000000008E84: BEBC0180
	v_readlane_b32 s82, v3, 18                                 // 000000008E88: D2890052 00012503
	s_and_b32 s82, s82, 0xffffff                               // 000000008E90: 8652FF52 00FFFFFF
	s_cmp_lt_u32 s82, s66                                      // 000000008E98: BF0A4252
	s_cselect_b32 s20, s36, s60                                // 000000008E9C: 85143C24
	v_readlane_b32 s82, v3, 19                                 // 000000008EA0: D2890052 00012703
	s_and_b32 s82, s82, 0xffffff                               // 000000008EA8: 8652FF52 00FFFFFF
	s_cmp_lt_u32 s82, s66                                      // 000000008EB0: BF0A4252
	s_cselect_b32 s21, s36, s60                                // 000000008EB4: 85153C24
	s_mov_b64 exec, s[20:21]                                   // 000000008EB8: BEFE0114
	global_atomic_add_f32 v6, v109, s[8:9]                     // 000000008EBC: DD348000 00086D06
	s_mov_b64 exec, s[36:37]                                   // 000000008EC4: BEFE0124
	v_mov_b32_e32 v6, v62                                      // 000000008EC8: 7E0C033E
	s_mov_b64 s[60:61], 0                                      // 000000008ECC: BEBC0180
	v_readlane_b32 s82, v3, 20                                 // 000000008ED0: D2890052 00012903
	s_and_b32 s82, s82, 0xffffff                               // 000000008ED8: 8652FF52 00FFFFFF
	s_cmp_lt_u32 s82, s66                                      // 000000008EE0: BF0A4252
	s_cselect_b32 s20, s36, s60                                // 000000008EE4: 85143C24
	v_readlane_b32 s82, v3, 21                                 // 000000008EE8: D2890052 00012B03
	s_and_b32 s82, s82, 0xffffff                               // 000000008EF0: 8652FF52 00FFFFFF
	s_cmp_lt_u32 s82, s66                                      // 000000008EF8: BF0A4252
	s_cselect_b32 s21, s36, s60                                // 000000008EFC: 85153C24
	s_mov_b64 exec, s[20:21]                                   // 000000008F00: BEFE0114
	global_atomic_add_f32 v6, v112, s[8:9]                     // 000000008F04: DD348000 00087006
	s_mov_b64 exec, s[36:37]                                   // 000000008F0C: BEFE0124
	v_mov_b32_e32 v6, v63                                      // 000000008F10: 7E0C033F
	s_mov_b64 s[60:61], 0                                      // 000000008F14: BEBC0180
	v_readlane_b32 s82, v3, 22                                 // 000000008F18: D2890052 00012D03
	s_and_b32 s82, s82, 0xffffff                               // 000000008F20: 8652FF52 00FFFFFF
	s_cmp_lt_u32 s82, s66                                      // 000000008F28: BF0A4252
	s_cselect_b32 s20, s36, s60                                // 000000008F2C: 85143C24
	v_readlane_b32 s82, v3, 23                                 // 000000008F30: D2890052 00012F03
	s_and_b32 s82, s82, 0xffffff                               // 000000008F38: 8652FF52 00FFFFFF
	s_cmp_lt_u32 s82, s66                                      // 000000008F40: BF0A4252
	s_cselect_b32 s21, s36, s60                                // 000000008F44: 85153C24
	s_mov_b64 exec, s[20:21]                                   // 000000008F48: BEFE0114
	global_atomic_add_f32 v6, v113, s[8:9]                     // 000000008F4C: DD348000 00087106
	s_mov_b64 exec, s[36:37]                                   // 000000008F54: BEFE0124
	ds_write_b64 v20, v[94:95]                                 // 000000008F58: D89A0000 00005E14
	ds_write_b64 v20, v[98:99] offset:2176                     // 000000008F60: D89A0880 00006214
	ds_write_b64 v20, v[102:103] offset:4352                   // 000000008F68: D89A1100 00006614
	ds_write_b64 v20, v[106:107] offset:6528                   // 000000008F70: D89A1980 00006A14
	ds_write_b64 v20, v[110:111] offset:8704                   // 000000008F78: D89A2200 00006E14
	ds_write_b64 v20, v[114:115] offset:10880                  // 000000008F80: D89A2A80 00007214
	s_waitcnt lgkmcnt(0)                                       // 000000008F88: BF8CC07F
	s_barrier                                                  // 000000008F8C: BF8A0000
	ds_read_b32 v94, v21                                       // 000000008F90: D86C0000 5E000015
	ds_read_b32 v95, v21 offset:64                             // 000000008F98: D86C0040 5F000015
	ds_read_b32 v98, v21 offset:2176                           // 000000008FA0: D86C0880 62000015
	ds_read_b32 v99, v21 offset:2240                           // 000000008FA8: D86C08C0 63000015
	ds_read_b32 v102, v21 offset:4352                          // 000000008FB0: D86C1100 66000015
	ds_read_b32 v103, v21 offset:4416                          // 000000008FB8: D86C1140 67000015
	ds_read_b32 v106, v21 offset:6528                          // 000000008FC0: D86C1980 6A000015
	ds_read_b32 v107, v21 offset:6592                          // 000000008FC8: D86C19C0 6B000015
	ds_read_b32 v110, v21 offset:8704                          // 000000008FD0: D86C2200 6E000015
	ds_read_b32 v111, v21 offset:8768                          // 000000008FD8: D86C2240 6F000015
	ds_read_b32 v114, v21 offset:10880                         // 000000008FE0: D86C2A80 72000015
	ds_read_b32 v115, v21 offset:10944                         // 000000008FE8: D86C2AC0 73000015
	s_waitcnt lgkmcnt(0)                                       // 000000008FF0: BF8CC07F
	v_mov_b32_e32 v7, 0                                        // 000000008FF4: 7E0E0280
	s_mov_b64 exec, s[36:37]                                   // 000000008FF8: BEFE0124
	v_mov_b32_e32 v6, v52                                      // 000000008FFC: 7E0C0334
	s_mov_b64 s[60:61], 0                                      // 000000009000: BEBC0180
	v_readlane_b32 s82, v3, 0                                  // 000000009004: D2890052 00010103
	s_and_b32 s82, s82, 0xffffff                               // 00000000900C: 8652FF52 00FFFFFF
	s_cmp_lt_u32 s82, s66                                      // 000000009014: BF0A4252
	s_cselect_b32 s20, s36, s60                                // 000000009018: 85143C24
	v_readlane_b32 s82, v3, 1                                  // 00000000901C: D2890052 00010303
	s_and_b32 s82, s82, 0xffffff                               // 000000009024: 8652FF52 00FFFFFF
	s_cmp_lt_u32 s82, s66                                      // 00000000902C: BF0A4252
	s_cselect_b32 s21, s36, s60                                // 000000009030: 85153C24
	s_mov_b64 exec, s[20:21]                                   // 000000009034: BEFE0114
	global_atomic_add_f32 v6, v94, s[8:9] offset:8             // 000000009038: DD348008 00085E06
	s_mov_b64 exec, s[36:37]                                   // 000000009040: BEFE0124
	v_mov_b32_e32 v6, v53                                      // 000000009044: 7E0C0335
	s_mov_b64 s[60:61], 0                                      // 000000009048: BEBC0180
	v_readlane_b32 s82, v3, 2                                  // 00000000904C: D2890052 00010503
	s_and_b32 s82, s82, 0xffffff                               // 000000009054: 8652FF52 00FFFFFF
	s_cmp_lt_u32 s82, s66                                      // 00000000905C: BF0A4252
	s_cselect_b32 s20, s36, s60                                // 000000009060: 85143C24
	v_readlane_b32 s82, v3, 3                                  // 000000009064: D2890052 00010703
	s_and_b32 s82, s82, 0xffffff                               // 00000000906C: 8652FF52 00FFFFFF
	s_cmp_lt_u32 s82, s66                                      // 000000009074: BF0A4252
	s_cselect_b32 s21, s36, s60                                // 000000009078: 85153C24
	s_mov_b64 exec, s[20:21]                                   // 00000000907C: BEFE0114
	global_atomic_add_f32 v6, v95, s[8:9] offset:8             // 000000009080: DD348008 00085F06
	s_mov_b64 exec, s[36:37]                                   // 000000009088: BEFE0124
	v_mov_b32_e32 v6, v54                                      // 00000000908C: 7E0C0336
	s_mov_b64 s[60:61], 0                                      // 000000009090: BEBC0180
	v_readlane_b32 s82, v3, 4                                  // 000000009094: D2890052 00010903
	s_and_b32 s82, s82, 0xffffff                               // 00000000909C: 8652FF52 00FFFFFF
	s_cmp_lt_u32 s82, s66                                      // 0000000090A4: BF0A4252
	s_cselect_b32 s20, s36, s60                                // 0000000090A8: 85143C24
	v_readlane_b32 s82, v3, 5                                  // 0000000090AC: D2890052 00010B03
	s_and_b32 s82, s82, 0xffffff                               // 0000000090B4: 8652FF52 00FFFFFF
	s_cmp_lt_u32 s82, s66                                      // 0000000090BC: BF0A4252
	s_cselect_b32 s21, s36, s60                                // 0000000090C0: 85153C24
	s_mov_b64 exec, s[20:21]                                   // 0000000090C4: BEFE0114
	global_atomic_add_f32 v6, v98, s[8:9] offset:8             // 0000000090C8: DD348008 00086206
	s_mov_b64 exec, s[36:37]                                   // 0000000090D0: BEFE0124
	v_mov_b32_e32 v6, v55                                      // 0000000090D4: 7E0C0337
	s_mov_b64 s[60:61], 0                                      // 0000000090D8: BEBC0180
	v_readlane_b32 s82, v3, 6                                  // 0000000090DC: D2890052 00010D03
	s_and_b32 s82, s82, 0xffffff                               // 0000000090E4: 8652FF52 00FFFFFF
	s_cmp_lt_u32 s82, s66                                      // 0000000090EC: BF0A4252
	s_cselect_b32 s20, s36, s60                                // 0000000090F0: 85143C24
	v_readlane_b32 s82, v3, 7                                  // 0000000090F4: D2890052 00010F03
	s_and_b32 s82, s82, 0xffffff                               // 0000000090FC: 8652FF52 00FFFFFF
	s_cmp_lt_u32 s82, s66                                      // 000000009104: BF0A4252
	s_cselect_b32 s21, s36, s60                                // 000000009108: 85153C24
	s_mov_b64 exec, s[20:21]                                   // 00000000910C: BEFE0114
	global_atomic_add_f32 v6, v99, s[8:9] offset:8             // 000000009110: DD348008 00086306
	s_mov_b64 exec, s[36:37]                                   // 000000009118: BEFE0124
	v_mov_b32_e32 v6, v56                                      // 00000000911C: 7E0C0338
	s_mov_b64 s[60:61], 0                                      // 000000009120: BEBC0180
	v_readlane_b32 s82, v3, 8                                  // 000000009124: D2890052 00011103
	s_and_b32 s82, s82, 0xffffff                               // 00000000912C: 8652FF52 00FFFFFF
	s_cmp_lt_u32 s82, s66                                      // 000000009134: BF0A4252
	s_cselect_b32 s20, s36, s60                                // 000000009138: 85143C24
	v_readlane_b32 s82, v3, 9                                  // 00000000913C: D2890052 00011303
	s_and_b32 s82, s82, 0xffffff                               // 000000009144: 8652FF52 00FFFFFF
	s_cmp_lt_u32 s82, s66                                      // 00000000914C: BF0A4252
	s_cselect_b32 s21, s36, s60                                // 000000009150: 85153C24
	s_mov_b64 exec, s[20:21]                                   // 000000009154: BEFE0114
	global_atomic_add_f32 v6, v102, s[8:9] offset:8            // 000000009158: DD348008 00086606
	s_mov_b64 exec, s[36:37]                                   // 000000009160: BEFE0124
	v_mov_b32_e32 v6, v57                                      // 000000009164: 7E0C0339
	s_mov_b64 s[60:61], 0                                      // 000000009168: BEBC0180
	v_readlane_b32 s82, v3, 10                                 // 00000000916C: D2890052 00011503
	s_and_b32 s82, s82, 0xffffff                               // 000000009174: 8652FF52 00FFFFFF
	s_cmp_lt_u32 s82, s66                                      // 00000000917C: BF0A4252
	s_cselect_b32 s20, s36, s60                                // 000000009180: 85143C24
	v_readlane_b32 s82, v3, 11                                 // 000000009184: D2890052 00011703
	s_and_b32 s82, s82, 0xffffff                               // 00000000918C: 8652FF52 00FFFFFF
	s_cmp_lt_u32 s82, s66                                      // 000000009194: BF0A4252
	s_cselect_b32 s21, s36, s60                                // 000000009198: 85153C24
	s_mov_b64 exec, s[20:21]                                   // 00000000919C: BEFE0114
	global_atomic_add_f32 v6, v103, s[8:9] offset:8            // 0000000091A0: DD348008 00086706
	s_mov_b64 exec, s[36:37]                                   // 0000000091A8: BEFE0124
	v_mov_b32_e32 v6, v58                                      // 0000000091AC: 7E0C033A
	s_mov_b64 s[60:61], 0                                      // 0000000091B0: BEBC0180
	v_readlane_b32 s82, v3, 12                                 // 0000000091B4: D2890052 00011903
	s_and_b32 s82, s82, 0xffffff                               // 0000000091BC: 8652FF52 00FFFFFF
	s_cmp_lt_u32 s82, s66                                      // 0000000091C4: BF0A4252
	s_cselect_b32 s20, s36, s60                                // 0000000091C8: 85143C24
	v_readlane_b32 s82, v3, 13                                 // 0000000091CC: D2890052 00011B03
	s_and_b32 s82, s82, 0xffffff                               // 0000000091D4: 8652FF52 00FFFFFF
	s_cmp_lt_u32 s82, s66                                      // 0000000091DC: BF0A4252
	s_cselect_b32 s21, s36, s60                                // 0000000091E0: 85153C24
	s_mov_b64 exec, s[20:21]                                   // 0000000091E4: BEFE0114
	global_atomic_add_f32 v6, v106, s[8:9] offset:8            // 0000000091E8: DD348008 00086A06
	s_mov_b64 exec, s[36:37]                                   // 0000000091F0: BEFE0124
	v_mov_b32_e32 v6, v59                                      // 0000000091F4: 7E0C033B
	s_mov_b64 s[60:61], 0                                      // 0000000091F8: BEBC0180
	v_readlane_b32 s82, v3, 14                                 // 0000000091FC: D2890052 00011D03
	s_and_b32 s82, s82, 0xffffff                               // 000000009204: 8652FF52 00FFFFFF
	s_cmp_lt_u32 s82, s66                                      // 00000000920C: BF0A4252
	s_cselect_b32 s20, s36, s60                                // 000000009210: 85143C24
	v_readlane_b32 s82, v3, 15                                 // 000000009214: D2890052 00011F03
	s_and_b32 s82, s82, 0xffffff                               // 00000000921C: 8652FF52 00FFFFFF
	s_cmp_lt_u32 s82, s66                                      // 000000009224: BF0A4252
	s_cselect_b32 s21, s36, s60                                // 000000009228: 85153C24
	s_mov_b64 exec, s[20:21]                                   // 00000000922C: BEFE0114
	global_atomic_add_f32 v6, v107, s[8:9] offset:8            // 000000009230: DD348008 00086B06
	s_mov_b64 exec, s[36:37]                                   // 000000009238: BEFE0124
	v_mov_b32_e32 v6, v60                                      // 00000000923C: 7E0C033C
	s_mov_b64 s[60:61], 0                                      // 000000009240: BEBC0180
	v_readlane_b32 s82, v3, 16                                 // 000000009244: D2890052 00012103
	s_and_b32 s82, s82, 0xffffff                               // 00000000924C: 8652FF52 00FFFFFF
	s_cmp_lt_u32 s82, s66                                      // 000000009254: BF0A4252
	s_cselect_b32 s20, s36, s60                                // 000000009258: 85143C24
	v_readlane_b32 s82, v3, 17                                 // 00000000925C: D2890052 00012303
	s_and_b32 s82, s82, 0xffffff                               // 000000009264: 8652FF52 00FFFFFF
	s_cmp_lt_u32 s82, s66                                      // 00000000926C: BF0A4252
	s_cselect_b32 s21, s36, s60                                // 000000009270: 85153C24
	s_mov_b64 exec, s[20:21]                                   // 000000009274: BEFE0114
	global_atomic_add_f32 v6, v110, s[8:9] offset:8            // 000000009278: DD348008 00086E06
	s_mov_b64 exec, s[36:37]                                   // 000000009280: BEFE0124
	v_mov_b32_e32 v6, v61                                      // 000000009284: 7E0C033D
	s_mov_b64 s[60:61], 0                                      // 000000009288: BEBC0180
	v_readlane_b32 s82, v3, 18                                 // 00000000928C: D2890052 00012503
	s_and_b32 s82, s82, 0xffffff                               // 000000009294: 8652FF52 00FFFFFF
	s_cmp_lt_u32 s82, s66                                      // 00000000929C: BF0A4252
	s_cselect_b32 s20, s36, s60                                // 0000000092A0: 85143C24
	v_readlane_b32 s82, v3, 19                                 // 0000000092A4: D2890052 00012703
	s_and_b32 s82, s82, 0xffffff                               // 0000000092AC: 8652FF52 00FFFFFF
	s_cmp_lt_u32 s82, s66                                      // 0000000092B4: BF0A4252
	s_cselect_b32 s21, s36, s60                                // 0000000092B8: 85153C24
	s_mov_b64 exec, s[20:21]                                   // 0000000092BC: BEFE0114
	global_atomic_add_f32 v6, v111, s[8:9] offset:8            // 0000000092C0: DD348008 00086F06
	s_mov_b64 exec, s[36:37]                                   // 0000000092C8: BEFE0124
	v_mov_b32_e32 v6, v62                                      // 0000000092CC: 7E0C033E
	s_mov_b64 s[60:61], 0                                      // 0000000092D0: BEBC0180
	v_readlane_b32 s82, v3, 20                                 // 0000000092D4: D2890052 00012903
	s_and_b32 s82, s82, 0xffffff                               // 0000000092DC: 8652FF52 00FFFFFF
	s_cmp_lt_u32 s82, s66                                      // 0000000092E4: BF0A4252
	s_cselect_b32 s20, s36, s60                                // 0000000092E8: 85143C24
	v_readlane_b32 s82, v3, 21                                 // 0000000092EC: D2890052 00012B03
	s_and_b32 s82, s82, 0xffffff                               // 0000000092F4: 8652FF52 00FFFFFF
	s_cmp_lt_u32 s82, s66                                      // 0000000092FC: BF0A4252
	s_cselect_b32 s21, s36, s60                                // 000000009300: 85153C24
	s_mov_b64 exec, s[20:21]                                   // 000000009304: BEFE0114
	global_atomic_add_f32 v6, v114, s[8:9] offset:8            // 000000009308: DD348008 00087206
	s_mov_b64 exec, s[36:37]                                   // 000000009310: BEFE0124
	v_mov_b32_e32 v6, v63                                      // 000000009314: 7E0C033F
	s_mov_b64 s[60:61], 0                                      // 000000009318: BEBC0180
	v_readlane_b32 s82, v3, 22                                 // 00000000931C: D2890052 00012D03
	s_and_b32 s82, s82, 0xffffff                               // 000000009324: 8652FF52 00FFFFFF
	s_cmp_lt_u32 s82, s66                                      // 00000000932C: BF0A4252
	s_cselect_b32 s20, s36, s60                                // 000000009330: 85143C24
	v_readlane_b32 s82, v3, 23                                 // 000000009334: D2890052 00012F03
	s_and_b32 s82, s82, 0xffffff                               // 00000000933C: 8652FF52 00FFFFFF
	s_cmp_lt_u32 s82, s66                                      // 000000009344: BF0A4252
	s_cselect_b32 s21, s36, s60                                // 000000009348: 85153C24
	s_mov_b64 exec, s[20:21]                                   // 00000000934C: BEFE0114
	global_atomic_add_f32 v6, v115, s[8:9] offset:8            // 000000009350: DD348008 00087306
	s_mov_b64 exec, s[36:37]                                   // 000000009358: BEFE0124
	s_branch label_1A5B                                        // 00000000935C: BF820000

0000000000009360 <label_1A5B>:
	s_waitcnt vmcnt(0) expcnt(0) lgkmcnt(0)                    // 000000009360: BF8C0000
	s_endpgm                                                   // 000000009364: BF810000
